;; amdgpu-corpus repo=ROCm/rocFFT kind=compiled arch=gfx1030 opt=O3
	.text
	.amdgcn_target "amdgcn-amd-amdhsa--gfx1030"
	.amdhsa_code_object_version 6
	.protected	bluestein_single_back_len1155_dim1_dp_op_CI_CI ; -- Begin function bluestein_single_back_len1155_dim1_dp_op_CI_CI
	.globl	bluestein_single_back_len1155_dim1_dp_op_CI_CI
	.p2align	8
	.type	bluestein_single_back_len1155_dim1_dp_op_CI_CI,@function
bluestein_single_back_len1155_dim1_dp_op_CI_CI: ; @bluestein_single_back_len1155_dim1_dp_op_CI_CI
; %bb.0:
	s_load_dwordx4 s[8:11], s[4:5], 0x28
	v_mul_u32_u24_e32 v1, 0x4a8, v0
	s_mov_b64 s[42:43], s[2:3]
	s_mov_b64 s[40:41], s[0:1]
	v_mov_b32_e32 v5, 0
	s_add_u32 s40, s40, s7
	v_lshrrev_b32_e32 v1, 16, v1
	s_addc_u32 s41, s41, 0
	s_mov_b32 s0, exec_lo
	v_add_nc_u32_e32 v4, s6, v1
	s_waitcnt lgkmcnt(0)
	v_cmpx_gt_u64_e64 s[8:9], v[4:5]
	s_cbranch_execz .LBB0_23
; %bb.1:
	s_clause 0x1
	s_load_dwordx4 s[0:3], s[4:5], 0x18
	s_load_dwordx2 s[6:7], s[4:5], 0x0
	v_mul_lo_u16 v1, v1, 55
	v_mov_b32_e32 v5, v4
	v_sub_nc_u16 v90, v0, v1
	v_and_b32_e32 v182, 0xffff, v90
	v_lshlrev_b32_e32 v167, 4, v182
	s_waitcnt lgkmcnt(0)
	s_load_dwordx4 s[12:15], s[0:1], 0x0
	s_clause 0x1
	global_load_dwordx4 v[95:98], v167, s[6:7]
	global_load_dwordx4 v[91:94], v167, s[6:7] offset:1680
	v_add_co_u32 v128, s0, s6, v167
	v_add_co_ci_u32_e64 v129, null, s7, 0, s0
	buffer_store_dword v5, off, s[40:43], 0 offset:112 ; 4-byte Folded Spill
	buffer_store_dword v6, off, s[40:43], 0 offset:116 ; 4-byte Folded Spill
	v_add_co_u32 v16, vcc_lo, 0x800, v128
	v_add_co_ci_u32_e32 v17, vcc_lo, 0, v129, vcc_lo
	v_add_co_u32 v12, vcc_lo, 0x1000, v128
	buffer_store_dword v16, off, s[40:43], 0 offset:104 ; 4-byte Folded Spill
	buffer_store_dword v17, off, s[40:43], 0 offset:108 ; 4-byte Folded Spill
	v_add_co_ci_u32_e32 v13, vcc_lo, 0, v129, vcc_lo
	v_add_co_u32 v10, vcc_lo, 0x1800, v128
	v_add_co_ci_u32_e32 v11, vcc_lo, 0, v129, vcc_lo
	v_add_co_u32 v8, vcc_lo, 0x2000, v128
	;; [unrolled: 2-line block ×3, first 2 shown]
	v_add_co_ci_u32_e32 v15, vcc_lo, 0, v129, vcc_lo
	s_waitcnt lgkmcnt(0)
	v_mad_u64_u32 v[0:1], null, s14, v4, 0
	v_mad_u64_u32 v[2:3], null, s12, v182, 0
	v_add_co_u32 v44, vcc_lo, 0x3000, v128
	v_add_co_ci_u32_e32 v45, vcc_lo, 0, v129, vcc_lo
	v_add_co_u32 v40, vcc_lo, 0x3800, v128
	v_mad_u64_u32 v[4:5], null, s15, v4, v[1:2]
	v_mov_b32_e32 v1, v3
	v_add_co_ci_u32_e32 v41, vcc_lo, 0, v129, vcc_lo
	v_add_co_u32 v42, vcc_lo, 0x4000, v128
	v_mad_u64_u32 v[5:6], null, s13, v182, v[1:2]
	v_mov_b32_e32 v1, v4
	v_add_co_ci_u32_e32 v43, vcc_lo, 0, v129, vcc_lo
	s_mul_i32 s1, s13, 0x69
	s_mul_hi_u32 s6, s12, 0x69
	v_lshlrev_b64 v[0:1], 4, v[0:1]
	v_mov_b32_e32 v3, v5
	s_mul_i32 s0, s12, 0x69
	s_add_i32 s1, s6, s1
	s_lshl_b64 s[14:15], s[0:1], 4
	v_lshlrev_b64 v[2:3], 4, v[2:3]
	v_add_co_u32 v0, vcc_lo, s10, v0
	v_add_co_ci_u32_e32 v1, vcc_lo, s11, v1, vcc_lo
	v_add_co_u32 v0, vcc_lo, v0, v2
	v_add_co_ci_u32_e32 v1, vcc_lo, v1, v3, vcc_lo
	v_add_co_u32 v6, vcc_lo, v0, s14
	v_add_co_ci_u32_e32 v7, vcc_lo, s15, v1, vcc_lo
	global_load_dwordx4 v[134:137], v[16:17], off offset:1312
	buffer_store_dword v12, off, s[40:43], 0 offset:88 ; 4-byte Folded Spill
	buffer_store_dword v13, off, s[40:43], 0 offset:92 ; 4-byte Folded Spill
	global_load_dwordx4 v[111:114], v[12:13], off offset:944
	buffer_store_dword v10, off, s[40:43], 0 offset:80 ; 4-byte Folded Spill
	buffer_store_dword v11, off, s[40:43], 0 offset:84 ; 4-byte Folded Spill
	s_clause 0x1
	global_load_dwordx4 v[130:133], v[10:11], off offset:576
	global_load_dwordx4 v[107:110], v[8:9], off offset:208
	buffer_store_dword v8, off, s[40:43], 0 offset:72 ; 4-byte Folded Spill
	buffer_store_dword v9, off, s[40:43], 0 offset:76 ; 4-byte Folded Spill
	v_add_co_u32 v10, vcc_lo, v6, s14
	v_add_co_ci_u32_e32 v11, vcc_lo, s15, v7, vcc_lo
	global_load_dwordx4 v[103:106], v[8:9], off offset:1888
	buffer_store_dword v14, off, s[40:43], 0 offset:96 ; 4-byte Folded Spill
	buffer_store_dword v15, off, s[40:43], 0 offset:100 ; 4-byte Folded Spill
	global_load_dwordx4 v[99:102], v[14:15], off offset:1520
	v_add_co_u32 v14, vcc_lo, v10, s14
	v_add_co_ci_u32_e32 v15, vcc_lo, s15, v11, vcc_lo
	s_clause 0x1
	global_load_dwordx4 v[2:5], v[0:1], off
	global_load_dwordx4 v[6:9], v[6:7], off
	v_add_co_u32 v0, vcc_lo, v14, s14
	v_add_co_ci_u32_e32 v1, vcc_lo, s15, v15, vcc_lo
	s_clause 0x1
	global_load_dwordx4 v[10:13], v[10:11], off
	global_load_dwordx4 v[14:17], v[14:15], off
	v_add_co_u32 v22, vcc_lo, v0, s14
	v_add_co_ci_u32_e32 v23, vcc_lo, s15, v1, vcc_lo
	global_load_dwordx4 v[18:21], v[0:1], off
	v_add_co_u32 v0, vcc_lo, v22, s14
	v_add_co_ci_u32_e32 v1, vcc_lo, s15, v23, vcc_lo
	;; [unrolled: 3-line block ×4, first 2 shown]
	global_load_dwordx4 v[30:33], v[30:31], off
	v_add_co_u32 v38, vcc_lo, v0, s14
	global_load_dwordx4 v[34:37], v[0:1], off
	buffer_store_dword v44, off, s[40:43], 0 offset:64 ; 4-byte Folded Spill
	buffer_store_dword v45, off, s[40:43], 0 offset:68 ; 4-byte Folded Spill
	v_add_co_ci_u32_e32 v39, vcc_lo, s15, v1, vcc_lo
	v_add_co_u32 v0, vcc_lo, v38, s14
	v_add_co_ci_u32_e32 v1, vcc_lo, s15, v39, vcc_lo
	v_cmp_gt_u16_e32 vcc_lo, 50, v90
	s_waitcnt vmcnt(8)
	v_mul_f64 v[46:47], v[4:5], v[97:98]
	s_waitcnt vmcnt(7)
	v_mul_f64 v[50:51], v[8:9], v[93:94]
	v_mul_f64 v[48:49], v[2:3], v[97:98]
	;; [unrolled: 1-line block ×3, first 2 shown]
	s_waitcnt vmcnt(6)
	v_mul_f64 v[54:55], v[12:13], v[136:137]
	s_waitcnt vmcnt(5)
	v_mul_f64 v[58:59], v[16:17], v[113:114]
	v_mul_f64 v[56:57], v[10:11], v[136:137]
	;; [unrolled: 1-line block ×3, first 2 shown]
	s_waitcnt vmcnt(4)
	v_mul_f64 v[62:63], v[20:21], v[132:133]
	v_mul_f64 v[64:65], v[18:19], v[132:133]
	s_waitcnt vmcnt(3)
	v_mul_f64 v[66:67], v[24:25], v[109:110]
	v_mul_f64 v[68:69], v[22:23], v[109:110]
	;; [unrolled: 3-line block ×3, first 2 shown]
	v_fma_f64 v[2:3], v[2:3], v[95:96], v[46:47]
	v_fma_f64 v[6:7], v[6:7], v[91:92], v[50:51]
	s_waitcnt vmcnt(1)
	v_mul_f64 v[74:75], v[32:33], v[101:102]
	v_mul_f64 v[76:77], v[30:31], v[101:102]
	v_fma_f64 v[10:11], v[10:11], v[134:135], v[54:55]
	global_load_dwordx4 v[119:122], v[44:45], off offset:1152
	buffer_store_dword v40, off, s[40:43], 0 offset:56 ; 4-byte Folded Spill
	buffer_store_dword v41, off, s[40:43], 0 offset:60 ; 4-byte Folded Spill
	v_fma_f64 v[14:15], v[14:15], v[111:112], v[58:59]
	global_load_dwordx4 v[115:118], v[40:41], off offset:784
	global_load_dwordx4 v[38:41], v[38:39], off
	buffer_store_dword v42, off, s[40:43], 0 offset:48 ; 4-byte Folded Spill
	buffer_store_dword v43, off, s[40:43], 0 offset:52 ; 4-byte Folded Spill
	s_waitcnt vmcnt(2)
	v_mul_f64 v[78:79], v[36:37], v[121:122]
	v_fma_f64 v[18:19], v[18:19], v[130:131], v[62:63]
	v_fma_f64 v[22:23], v[22:23], v[107:108], v[66:67]
	;; [unrolled: 1-line block ×4, first 2 shown]
	v_mul_f64 v[80:81], v[34:35], v[121:122]
	global_load_dwordx4 v[123:126], v[42:43], off offset:416
	global_load_dwordx4 v[42:45], v[0:1], off
	s_waitcnt vmcnt(2)
	v_mul_f64 v[82:83], v[40:41], v[117:118]
	buffer_store_dword v95, off, s[40:43], 0 offset:140 ; 4-byte Folded Spill
	buffer_store_dword v96, off, s[40:43], 0 offset:144 ; 4-byte Folded Spill
	;; [unrolled: 1-line block ×32, first 2 shown]
	v_fma_f64 v[34:35], v[34:35], v[119:120], v[78:79]
	buffer_store_dword v119, off, s[40:43], 0 offset:236 ; 4-byte Folded Spill
	buffer_store_dword v120, off, s[40:43], 0 offset:240 ; 4-byte Folded Spill
	;; [unrolled: 1-line block ×4, first 2 shown]
	v_mul_f64 v[84:85], v[38:39], v[117:118]
	v_fma_f64 v[38:39], v[38:39], v[115:116], v[82:83]
	buffer_store_dword v115, off, s[40:43], 0 offset:220 ; 4-byte Folded Spill
	buffer_store_dword v116, off, s[40:43], 0 offset:224 ; 4-byte Folded Spill
	;; [unrolled: 1-line block ×4, first 2 shown]
	v_fma_f64 v[4:5], v[4:5], v[95:96], -v[48:49]
	s_waitcnt vmcnt(0)
	v_mul_f64 v[86:87], v[44:45], v[125:126]
	v_mul_f64 v[88:89], v[42:43], v[125:126]
	v_fma_f64 v[8:9], v[8:9], v[91:92], -v[52:53]
	v_fma_f64 v[12:13], v[12:13], v[134:135], -v[56:57]
	;; [unrolled: 1-line block ×9, first 2 shown]
	v_fma_f64 v[42:43], v[42:43], v[123:124], v[86:87]
	buffer_store_dword v123, off, s[40:43], 0 offset:252 ; 4-byte Folded Spill
	buffer_store_dword v124, off, s[40:43], 0 offset:256 ; 4-byte Folded Spill
	;; [unrolled: 1-line block ×4, first 2 shown]
	s_load_dwordx2 s[6:7], s[4:5], 0x38
	s_load_dwordx4 s[8:11], s[2:3], 0x0
	ds_write_b128 v167, v[2:5]
	ds_write_b128 v167, v[6:9] offset:1680
	ds_write_b128 v167, v[10:13] offset:3360
	;; [unrolled: 1-line block ×6, first 2 shown]
	v_fma_f64 v[44:45], v[44:45], v[123:124], -v[88:89]
	ds_write_b128 v167, v[30:33] offset:11760
	ds_write_b128 v167, v[34:37] offset:13440
	;; [unrolled: 1-line block ×4, first 2 shown]
	s_and_saveexec_b32 s1, vcc_lo
	s_cbranch_execz .LBB0_3
; %bb.2:
	v_mad_u64_u32 v[28:29], null, 0xffffc1d0, s12, v[0:1]
	global_load_dwordx4 v[0:3], v[128:129], off offset:880
	s_clause 0x1
	buffer_load_dword v4, off, s[40:43], 0 offset:104
	buffer_load_dword v5, off, s[40:43], 0 offset:108
	s_mul_i32 s0, s13, 0xffffc1d0
	s_sub_i32 s0, s0, s12
	v_add_nc_u32_e32 v29, s0, v29
	v_add_co_u32 v32, s0, v28, s14
	v_add_co_ci_u32_e64 v33, s0, s15, v29, s0
	v_add_co_u32 v36, s0, v32, s14
	v_add_co_ci_u32_e64 v37, s0, s15, v33, s0
	;; [unrolled: 2-line block ×10, first 2 shown]
	s_waitcnt vmcnt(0)
	global_load_dwordx4 v[4:7], v[4:5], off offset:512
	s_clause 0x1
	buffer_load_dword v12, off, s[40:43], 0 offset:88
	buffer_load_dword v13, off, s[40:43], 0 offset:92
	s_waitcnt vmcnt(0)
	s_clause 0x1
	global_load_dwordx4 v[8:11], v[12:13], off offset:144
	global_load_dwordx4 v[12:15], v[12:13], off offset:1824
	s_clause 0x1
	buffer_load_dword v16, off, s[40:43], 0 offset:80
	buffer_load_dword v17, off, s[40:43], 0 offset:84
	s_waitcnt vmcnt(0)
	global_load_dwordx4 v[16:19], v[16:17], off offset:1456
	s_clause 0x1
	buffer_load_dword v20, off, s[40:43], 0 offset:72
	buffer_load_dword v21, off, s[40:43], 0 offset:76
	s_waitcnt vmcnt(0)
	global_load_dwordx4 v[20:23], v[20:21], off offset:1088
	s_clause 0x1
	buffer_load_dword v24, off, s[40:43], 0 offset:96
	buffer_load_dword v25, off, s[40:43], 0 offset:100
	global_load_dwordx4 v[28:31], v[28:29], off
	global_load_dwordx4 v[32:35], v[32:33], off
	global_load_dwordx4 v[36:39], v[36:37], off
	s_waitcnt vmcnt(3)
	global_load_dwordx4 v[24:27], v[24:25], off offset:720
	global_load_dwordx4 v[40:43], v[40:41], off
	global_load_dwordx4 v[44:47], v[44:45], off
	;; [unrolled: 1-line block ×5, first 2 shown]
	s_clause 0x1
	buffer_load_dword v68, off, s[40:43], 0 offset:64
	buffer_load_dword v69, off, s[40:43], 0 offset:68
	global_load_dwordx4 v[64:67], v[64:65], off
	s_waitcnt vmcnt(11)
	v_mul_f64 v[88:89], v[30:31], v[2:3]
	v_mul_f64 v[2:3], v[28:29], v[2:3]
	s_waitcnt vmcnt(10)
	v_mul_f64 v[90:91], v[34:35], v[6:7]
	v_mul_f64 v[6:7], v[32:33], v[6:7]
	s_waitcnt vmcnt(9)
	v_mul_f64 v[92:93], v[38:39], v[10:11]
	v_mul_f64 v[10:11], v[36:37], v[10:11]
	s_waitcnt vmcnt(7)
	v_mul_f64 v[94:95], v[42:43], v[14:15]
	v_mul_f64 v[14:15], v[40:41], v[14:15]
	s_waitcnt vmcnt(6)
	v_mul_f64 v[96:97], v[46:47], v[18:19]
	v_mul_f64 v[18:19], v[44:45], v[18:19]
	s_waitcnt vmcnt(5)
	v_mul_f64 v[98:99], v[50:51], v[22:23]
	s_waitcnt vmcnt(1)
	s_clause 0x1
	global_load_dwordx4 v[60:63], v[68:69], off offset:352
	global_load_dwordx4 v[68:71], v[68:69], off offset:2032
	global_load_dwordx4 v[72:75], v[72:73], off
	s_clause 0x1
	buffer_load_dword v76, off, s[40:43], 0 offset:56
	buffer_load_dword v77, off, s[40:43], 0 offset:60
	v_mul_f64 v[22:23], v[48:49], v[22:23]
	v_mul_f64 v[100:101], v[54:55], v[26:27]
	;; [unrolled: 1-line block ×3, first 2 shown]
	v_fma_f64 v[26:27], v[28:29], v[0:1], v[88:89]
	v_fma_f64 v[28:29], v[30:31], v[0:1], -v[2:3]
	v_fma_f64 v[0:1], v[32:33], v[4:5], v[90:91]
	v_fma_f64 v[2:3], v[34:35], v[4:5], -v[6:7]
	;; [unrolled: 2-line block ×7, first 2 shown]
	s_waitcnt vmcnt(3)
	v_mul_f64 v[106:107], v[66:67], v[70:71]
	v_mul_f64 v[104:105], v[58:59], v[62:63]
	s_waitcnt vmcnt(0)
	global_load_dwordx4 v[76:79], v[76:77], off offset:1664
	s_clause 0x1
	buffer_load_dword v80, off, s[40:43], 0 offset:48
	buffer_load_dword v81, off, s[40:43], 0 offset:52
	v_mul_f64 v[62:63], v[56:57], v[62:63]
	v_mul_f64 v[70:71], v[64:65], v[70:71]
	s_waitcnt vmcnt(0)
	global_load_dwordx4 v[80:83], v[80:81], off offset:1296
	global_load_dwordx4 v[84:87], v[84:85], off
	v_mul_f64 v[108:109], v[74:75], v[78:79]
	v_mul_f64 v[78:79], v[72:73], v[78:79]
	v_fma_f64 v[30:31], v[56:57], v[60:61], v[104:105]
	v_fma_f64 v[32:33], v[58:59], v[60:61], -v[62:63]
	v_fma_f64 v[34:35], v[64:65], v[68:69], v[106:107]
	v_fma_f64 v[36:37], v[66:67], v[68:69], -v[70:71]
	;; [unrolled: 2-line block ×3, first 2 shown]
	s_waitcnt vmcnt(0)
	v_mul_f64 v[110:111], v[86:87], v[82:83]
	v_mul_f64 v[82:83], v[84:85], v[82:83]
	v_fma_f64 v[42:43], v[84:85], v[80:81], v[110:111]
	v_fma_f64 v[44:45], v[86:87], v[80:81], -v[82:83]
	ds_write_b128 v167, v[26:29] offset:880
	ds_write_b128 v167, v[0:3] offset:2560
	;; [unrolled: 1-line block ×11, first 2 shown]
.LBB0_3:
	s_or_b32 exec_lo, exec_lo, s1
	s_waitcnt lgkmcnt(0)
	s_waitcnt_vscnt null, 0x0
	s_barrier
	buffer_gl0_inv
	ds_read_b128 v[44:47], v167
	ds_read_b128 v[64:67], v167 offset:1680
	ds_read_b128 v[68:71], v167 offset:3360
	;; [unrolled: 1-line block ×10, first 2 shown]
                                        ; implicit-def: $vgpr8_vgpr9
                                        ; implicit-def: $vgpr56_vgpr57
                                        ; implicit-def: $vgpr52_vgpr53
                                        ; implicit-def: $vgpr32_vgpr33
                                        ; implicit-def: $vgpr28_vgpr29
                                        ; implicit-def: $vgpr24_vgpr25
                                        ; implicit-def: $vgpr20_vgpr21
                                        ; implicit-def: $vgpr16_vgpr17
                                        ; implicit-def: $vgpr12_vgpr13
                                        ; implicit-def: $vgpr4_vgpr5
                                        ; implicit-def: $vgpr0_vgpr1
	s_and_saveexec_b32 s0, vcc_lo
	s_cbranch_execz .LBB0_5
; %bb.4:
	ds_read_b128 v[8:11], v167 offset:880
	ds_read_b128 v[56:59], v167 offset:2560
	;; [unrolled: 1-line block ×11, first 2 shown]
.LBB0_5:
	s_or_b32 exec_lo, exec_lo, s0
	s_waitcnt lgkmcnt(9)
	v_add_f64 v[88:89], v[44:45], v[64:65]
	v_add_f64 v[90:91], v[46:47], v[66:67]
	s_waitcnt lgkmcnt(4)
	v_add_f64 v[94:95], v[82:83], v[86:87]
	s_waitcnt lgkmcnt(3)
	v_add_f64 v[96:97], v[40:41], -v[76:77]
	v_add_f64 v[98:99], v[42:43], -v[78:79]
	s_waitcnt lgkmcnt(2)
	v_add_f64 v[100:101], v[72:73], v[36:37]
	v_add_f64 v[104:105], v[72:73], -v[36:37]
	s_mov_b32 s20, 0xf8bb580b
	s_mov_b32 s0, 0x8eee2c13
	;; [unrolled: 1-line block ×10, first 2 shown]
	v_add_f64 v[102:103], v[74:75], v[38:39]
	v_add_f64 v[106:107], v[74:75], -v[38:39]
	s_waitcnt lgkmcnt(1)
	v_add_f64 v[108:109], v[68:69], v[60:61]
	v_add_f64 v[110:111], v[70:71], v[62:63]
	v_add_f64 v[112:113], v[68:69], -v[60:61]
	v_add_f64 v[88:89], v[88:89], v[68:69]
	v_add_f64 v[90:91], v[90:91], v[70:71]
	s_mov_b32 s18, 0x8764f0ba
	s_mov_b32 s14, 0xd9c712b6
	;; [unrolled: 1-line block ×18, first 2 shown]
	s_waitcnt lgkmcnt(0)
	v_add_f64 v[147:148], v[58:59], v[2:3]
	s_load_dwordx2 s[2:3], s[4:5], 0x8
	v_add_f64 v[88:89], v[88:89], v[72:73]
	v_add_f64 v[90:91], v[90:91], v[74:75]
	s_waitcnt lgkmcnt(0)
	s_barrier
	buffer_gl0_inv
	v_add_f64 v[88:89], v[88:89], v[40:41]
	v_add_f64 v[90:91], v[90:91], v[42:43]
	;; [unrolled: 1-line block ×4, first 2 shown]
	v_add_f64 v[82:83], v[82:83], -v[86:87]
	v_add_f64 v[88:89], v[88:89], v[84:85]
	v_add_f64 v[90:91], v[90:91], v[86:87]
	v_add_f64 v[86:87], v[42:43], v[78:79]
	v_add_f64 v[42:43], v[64:65], -v[48:49]
	v_add_f64 v[64:65], v[64:65], v[48:49]
	v_add_f64 v[92:93], v[88:89], v[76:77]
	;; [unrolled: 1-line block ×4, first 2 shown]
	v_add_f64 v[80:81], v[80:81], -v[84:85]
	v_add_f64 v[84:85], v[40:41], v[76:77]
	v_add_f64 v[40:41], v[66:67], -v[50:51]
	v_add_f64 v[66:67], v[66:67], v[50:51]
	v_mul_f64 v[76:77], v[42:43], s[20:21]
	v_mul_f64 v[78:79], v[42:43], s[12:13]
	v_add_f64 v[36:37], v[92:93], v[36:37]
	v_add_f64 v[38:39], v[90:91], v[38:39]
	v_add_f64 v[90:91], v[70:71], -v[62:63]
	v_mul_f64 v[68:69], v[40:41], s[20:21]
	v_mul_f64 v[70:71], v[40:41], s[0:1]
	;; [unrolled: 1-line block ×5, first 2 shown]
	v_fma_f64 v[118:119], v[66:67], s[18:19], v[76:77]
	v_fma_f64 v[122:123], v[66:67], s[16:17], v[78:79]
	v_fma_f64 v[78:79], v[66:67], s[16:17], -v[78:79]
	v_add_f64 v[36:37], v[36:37], v[60:61]
	v_add_f64 v[38:39], v[38:39], v[62:63]
	v_mul_f64 v[60:61], v[42:43], s[0:1]
	v_mul_f64 v[62:63], v[42:43], s[24:25]
	;; [unrolled: 1-line block ×3, first 2 shown]
	v_fma_f64 v[92:93], v[64:65], s[18:19], -v[68:69]
	v_fma_f64 v[68:69], v[64:65], s[18:19], v[68:69]
	v_fma_f64 v[114:115], v[64:65], s[14:15], -v[70:71]
	v_fma_f64 v[70:71], v[64:65], s[14:15], v[70:71]
	;; [unrolled: 2-line block ×4, first 2 shown]
	v_add_f64 v[122:123], v[46:47], v[122:123]
	v_add_f64 v[138:139], v[46:47], v[78:79]
	v_mul_f64 v[78:79], v[82:83], s[22:23]
	v_add_f64 v[36:37], v[36:37], v[48:49]
	v_fma_f64 v[48:49], v[64:65], s[16:17], -v[74:75]
	v_fma_f64 v[74:75], v[64:65], s[16:17], v[74:75]
	v_add_f64 v[38:39], v[38:39], v[50:51]
	v_fma_f64 v[50:51], v[66:67], s[18:19], -v[76:77]
	v_fma_f64 v[76:77], v[66:67], s[14:15], v[60:61]
	v_fma_f64 v[60:61], v[66:67], s[14:15], -v[60:61]
	v_fma_f64 v[64:65], v[66:67], s[28:29], v[62:63]
	;; [unrolled: 2-line block ×3, first 2 shown]
	v_fma_f64 v[42:43], v[66:67], s[26:27], -v[42:43]
	v_add_f64 v[66:67], v[44:45], v[92:93]
	v_add_f64 v[92:93], v[46:47], v[118:119]
	;; [unrolled: 1-line block ×8, first 2 shown]
	v_mul_f64 v[70:71], v[104:105], s[24:25]
	v_mul_f64 v[72:73], v[98:99], s[12:13]
	v_add_f64 v[48:49], v[44:45], v[48:49]
	v_add_f64 v[136:137], v[44:45], v[74:75]
	v_add_f64 v[44:45], v[44:45], v[40:41]
	v_mul_f64 v[40:41], v[90:91], s[0:1]
	v_add_f64 v[50:51], v[46:47], v[50:51]
	v_add_f64 v[76:77], v[46:47], v[76:77]
	;; [unrolled: 1-line block ×7, first 2 shown]
	v_mul_f64 v[64:65], v[112:113], s[0:1]
	v_mul_f64 v[74:75], v[96:97], s[12:13]
	v_fma_f64 v[42:43], v[108:109], s[14:15], -v[40:41]
	v_fma_f64 v[40:41], v[108:109], s[14:15], v[40:41]
	v_fma_f64 v[60:61], v[110:111], s[14:15], v[64:65]
	v_fma_f64 v[64:65], v[110:111], s[14:15], -v[64:65]
	v_add_f64 v[42:43], v[42:43], v[66:67]
	v_mul_f64 v[66:67], v[106:107], s[24:25]
	v_add_f64 v[40:41], v[40:41], v[68:69]
	v_add_f64 v[60:61], v[60:61], v[92:93]
	;; [unrolled: 1-line block ×3, first 2 shown]
	v_fma_f64 v[62:63], v[100:101], s[28:29], -v[66:67]
	v_fma_f64 v[64:65], v[100:101], s[28:29], v[66:67]
	v_mul_f64 v[66:67], v[112:113], s[12:13]
	v_add_f64 v[42:43], v[62:63], v[42:43]
	v_fma_f64 v[62:63], v[102:103], s[28:29], v[70:71]
	v_add_f64 v[40:41], v[64:65], v[40:41]
	v_fma_f64 v[64:65], v[102:103], s[28:29], -v[70:71]
	v_fma_f64 v[68:69], v[110:111], s[16:17], v[66:67]
	v_fma_f64 v[66:67], v[110:111], s[16:17], -v[66:67]
	v_add_f64 v[60:61], v[62:63], v[60:61]
	v_fma_f64 v[62:63], v[84:85], s[16:17], -v[72:73]
	v_add_f64 v[50:51], v[64:65], v[50:51]
	v_fma_f64 v[64:65], v[84:85], s[16:17], v[72:73]
	v_mul_f64 v[72:73], v[106:107], s[36:37]
	v_add_f64 v[68:69], v[68:69], v[76:77]
	v_mul_f64 v[76:77], v[98:99], s[38:39]
	v_add_f64 v[66:67], v[66:67], v[126:127]
	v_add_f64 v[42:43], v[62:63], v[42:43]
	v_fma_f64 v[62:63], v[86:87], s[16:17], v[74:75]
	v_add_f64 v[40:41], v[64:65], v[40:41]
	v_fma_f64 v[64:65], v[86:87], s[16:17], -v[74:75]
	v_fma_f64 v[70:71], v[100:101], s[26:27], -v[72:73]
	v_mul_f64 v[74:75], v[104:105], s[36:37]
	v_fma_f64 v[72:73], v[100:101], s[26:27], v[72:73]
	v_add_f64 v[62:63], v[62:63], v[60:61]
	v_fma_f64 v[60:61], v[88:89], s[26:27], -v[78:79]
	v_add_f64 v[50:51], v[64:65], v[50:51]
	v_fma_f64 v[64:65], v[88:89], s[26:27], v[78:79]
	v_mul_f64 v[78:79], v[96:97], s[38:39]
	v_add_f64 v[60:61], v[60:61], v[42:43]
	v_mul_f64 v[42:43], v[80:81], s[22:23]
	v_add_f64 v[40:41], v[64:65], v[40:41]
	v_fma_f64 v[92:93], v[94:95], s[26:27], v[42:43]
	v_fma_f64 v[42:43], v[94:95], s[26:27], -v[42:43]
	v_add_f64 v[62:63], v[92:93], v[62:63]
	v_add_f64 v[42:43], v[42:43], v[50:51]
	v_mul_f64 v[50:51], v[90:91], s[12:13]
	v_mul_f64 v[92:93], v[82:83], s[30:31]
	v_fma_f64 v[64:65], v[108:109], s[16:17], -v[50:51]
	v_fma_f64 v[50:51], v[108:109], s[16:17], v[50:51]
	v_add_f64 v[64:65], v[64:65], v[114:115]
	v_add_f64 v[50:51], v[50:51], v[118:119]
	;; [unrolled: 1-line block ×3, first 2 shown]
	v_fma_f64 v[70:71], v[102:103], s[26:27], v[74:75]
	v_add_f64 v[50:51], v[72:73], v[50:51]
	v_fma_f64 v[72:73], v[102:103], s[26:27], -v[74:75]
	v_add_f64 v[68:69], v[70:71], v[68:69]
	v_fma_f64 v[70:71], v[84:85], s[28:29], -v[76:77]
	v_add_f64 v[66:67], v[72:73], v[66:67]
	v_fma_f64 v[72:73], v[84:85], s[28:29], v[76:77]
	v_mul_f64 v[76:77], v[112:113], s[36:37]
	v_add_f64 v[64:65], v[70:71], v[64:65]
	v_fma_f64 v[70:71], v[86:87], s[28:29], v[78:79]
	v_add_f64 v[50:51], v[72:73], v[50:51]
	v_fma_f64 v[72:73], v[86:87], s[28:29], -v[78:79]
	v_mul_f64 v[78:79], v[106:107], s[34:35]
	v_add_f64 v[70:71], v[70:71], v[68:69]
	v_fma_f64 v[68:69], v[88:89], s[18:19], -v[92:93]
	v_add_f64 v[66:67], v[72:73], v[66:67]
	v_fma_f64 v[72:73], v[88:89], s[18:19], v[92:93]
	v_fma_f64 v[92:93], v[100:101], s[14:15], -v[78:79]
	v_fma_f64 v[78:79], v[100:101], s[14:15], v[78:79]
	v_add_f64 v[68:69], v[68:69], v[64:65]
	v_mul_f64 v[64:65], v[80:81], s[30:31]
	v_fma_f64 v[114:115], v[94:95], s[18:19], v[64:65]
	v_fma_f64 v[74:75], v[94:95], s[18:19], -v[64:65]
	v_add_f64 v[64:65], v[72:73], v[50:51]
	v_mul_f64 v[50:51], v[90:91], s[36:37]
	v_add_f64 v[70:71], v[114:115], v[70:71]
	v_add_f64 v[66:67], v[74:75], v[66:67]
	v_fma_f64 v[74:75], v[110:111], s[26:27], v[76:77]
	v_fma_f64 v[72:73], v[108:109], s[26:27], -v[50:51]
	v_fma_f64 v[50:51], v[108:109], s[26:27], v[50:51]
	v_fma_f64 v[76:77], v[110:111], s[26:27], -v[76:77]
	v_add_f64 v[74:75], v[74:75], v[130:131]
	v_add_f64 v[72:73], v[72:73], v[116:117]
	;; [unrolled: 1-line block ×5, first 2 shown]
	v_mul_f64 v[92:93], v[104:105], s[34:35]
	v_add_f64 v[50:51], v[78:79], v[50:51]
	v_fma_f64 v[114:115], v[102:103], s[14:15], v[92:93]
	v_fma_f64 v[78:79], v[102:103], s[14:15], -v[92:93]
	v_add_f64 v[74:75], v[114:115], v[74:75]
	v_mul_f64 v[114:115], v[98:99], s[20:21]
	v_add_f64 v[76:77], v[78:79], v[76:77]
	v_fma_f64 v[116:117], v[84:85], s[18:19], -v[114:115]
	v_fma_f64 v[78:79], v[84:85], s[18:19], v[114:115]
	v_add_f64 v[72:73], v[116:117], v[72:73]
	v_mul_f64 v[116:117], v[96:97], s[20:21]
	v_add_f64 v[50:51], v[78:79], v[50:51]
	v_fma_f64 v[118:119], v[86:87], s[18:19], v[116:117]
	v_fma_f64 v[78:79], v[86:87], s[18:19], -v[116:117]
	v_mul_f64 v[116:117], v[106:107], s[20:21]
	v_mul_f64 v[106:107], v[106:107], s[12:13]
	v_add_f64 v[74:75], v[118:119], v[74:75]
	v_mul_f64 v[118:119], v[82:83], s[12:13]
	v_add_f64 v[78:79], v[78:79], v[76:77]
	v_fma_f64 v[126:127], v[88:89], s[16:17], -v[118:119]
	v_fma_f64 v[76:77], v[88:89], s[16:17], v[118:119]
	v_fma_f64 v[118:119], v[100:101], s[18:19], -v[116:117]
	v_fma_f64 v[116:117], v[100:101], s[18:19], v[116:117]
	v_add_f64 v[72:73], v[126:127], v[72:73]
	v_mul_f64 v[126:127], v[80:81], s[12:13]
	v_add_f64 v[76:77], v[76:77], v[50:51]
	v_mul_f64 v[50:51], v[90:91], s[38:39]
	v_mul_f64 v[90:91], v[90:91], s[30:31]
	v_fma_f64 v[92:93], v[94:95], s[16:17], -v[126:127]
	v_fma_f64 v[130:131], v[94:95], s[16:17], v[126:127]
	v_add_f64 v[78:79], v[92:93], v[78:79]
	v_fma_f64 v[92:93], v[108:109], s[28:29], -v[50:51]
	v_fma_f64 v[50:51], v[108:109], s[28:29], v[50:51]
	v_add_f64 v[74:75], v[130:131], v[74:75]
	v_add_f64 v[48:49], v[92:93], v[48:49]
	v_mul_f64 v[92:93], v[112:113], s[38:39]
	v_add_f64 v[50:51], v[50:51], v[136:137]
	v_mul_f64 v[112:113], v[112:113], s[30:31]
	v_add_f64 v[135:136], v[56:57], -v[0:1]
	v_add_f64 v[48:49], v[118:119], v[48:49]
	v_fma_f64 v[114:115], v[110:111], s[28:29], v[92:93]
	v_mul_f64 v[118:119], v[104:105], s[20:21]
	v_fma_f64 v[92:93], v[110:111], s[28:29], -v[92:93]
	v_add_f64 v[50:51], v[116:117], v[50:51]
	v_mul_f64 v[149:150], v[135:136], s[20:21]
	v_mul_f64 v[165:166], v[135:136], s[0:1]
	v_add_f64 v[114:115], v[114:115], v[122:123]
	v_fma_f64 v[122:123], v[102:103], s[18:19], v[118:119]
	v_add_f64 v[92:93], v[92:93], v[138:139]
	v_fma_f64 v[116:117], v[102:103], s[18:19], -v[118:119]
	v_fma_f64 v[118:119], v[110:111], s[18:19], v[112:113]
	v_fma_f64 v[110:111], v[110:111], s[18:19], -v[112:113]
	v_mul_f64 v[112:113], v[80:81], s[34:35]
	v_add_f64 v[137:138], v[56:57], v[0:1]
	v_add_f64 v[114:115], v[122:123], v[114:115]
	v_mul_f64 v[122:123], v[98:99], s[22:23]
	v_add_f64 v[116:117], v[116:117], v[92:93]
	v_add_f64 v[118:119], v[118:119], v[124:125]
	v_mul_f64 v[98:99], v[98:99], s[34:35]
	v_add_f64 v[46:47], v[110:111], v[46:47]
	v_fma_f64 v[110:111], v[94:95], s[14:15], v[112:113]
	v_mul_f64 v[124:125], v[82:83], s[24:25]
	v_fma_f64 v[92:93], v[84:85], s[26:27], v[122:123]
	v_fma_f64 v[126:127], v[84:85], s[26:27], -v[122:123]
	v_add_f64 v[50:51], v[92:93], v[50:51]
	v_fma_f64 v[92:93], v[108:109], s[18:19], -v[90:91]
	v_add_f64 v[48:49], v[126:127], v[48:49]
	v_mul_f64 v[126:127], v[96:97], s[22:23]
	v_fma_f64 v[90:91], v[108:109], s[18:19], v[90:91]
	v_mul_f64 v[108:109], v[82:83], s[34:35]
	v_mul_f64 v[96:97], v[96:97], s[34:35]
	v_add_f64 v[92:93], v[92:93], v[120:121]
	v_fma_f64 v[120:121], v[100:101], s[16:17], -v[106:107]
	v_fma_f64 v[130:131], v[86:87], s[26:27], v[126:127]
	v_add_f64 v[44:45], v[90:91], v[44:45]
	v_fma_f64 v[90:91], v[88:89], s[14:15], -v[108:109]
	v_fma_f64 v[100:101], v[100:101], s[16:17], v[106:107]
	v_fma_f64 v[106:107], v[84:85], s[14:15], -v[98:99]
	v_fma_f64 v[122:123], v[86:87], s[14:15], v[96:97]
	v_fma_f64 v[84:85], v[84:85], s[14:15], v[98:99]
	v_add_f64 v[98:99], v[52:53], -v[4:5]
	v_add_f64 v[120:121], v[120:121], v[92:93]
	v_mul_f64 v[92:93], v[104:105], s[12:13]
	v_add_f64 v[114:115], v[130:131], v[114:115]
	v_mul_lo_u16 v130, v182, 11
	v_add_f64 v[44:45], v[100:101], v[44:45]
	v_add_f64 v[100:101], v[30:31], -v[18:19]
	v_mul_f64 v[161:162], v[98:99], s[12:13]
	v_add_f64 v[106:107], v[106:107], v[120:121]
	v_fma_f64 v[104:105], v[102:103], s[16:17], v[92:93]
	v_fma_f64 v[102:103], v[102:103], s[16:17], -v[92:93]
	v_add_f64 v[92:93], v[58:59], -v[2:3]
	v_add_f64 v[82:83], v[110:111], v[114:115]
	v_fma_f64 v[110:111], v[94:95], s[14:15], -v[112:113]
	v_fma_f64 v[112:113], v[88:89], s[28:29], -v[124:125]
	v_add_f64 v[44:45], v[84:85], v[44:45]
	v_mul_f64 v[139:140], v[100:101], s[12:13]
	v_add_f64 v[120:121], v[26:27], v[22:23]
	v_mul_f64 v[151:152], v[100:101], s[38:39]
	v_add_f64 v[104:105], v[104:105], v[118:119]
	v_fma_f64 v[118:119], v[86:87], s[26:27], -v[126:127]
	v_mul_f64 v[126:127], v[80:81], s[24:25]
	v_add_f64 v[80:81], v[90:91], v[48:49]
	v_fma_f64 v[48:49], v[88:89], s[14:15], v[108:109]
	v_add_f64 v[46:47], v[102:103], v[46:47]
	v_fma_f64 v[86:87], v[86:87], s[14:15], -v[96:97]
	v_mul_f64 v[145:146], v[92:93], s[20:21]
	v_add_f64 v[90:91], v[54:55], -v[6:7]
	v_add_f64 v[172:173], v[112:113], v[106:107]
	v_add_f64 v[112:113], v[54:55], v[6:7]
	v_add_f64 v[96:97], v[26:27], -v[22:23]
	v_add_f64 v[102:103], v[24:25], -v[20:21]
	v_mul_f64 v[163:164], v[92:93], s[0:1]
	v_add_f64 v[104:105], v[122:123], v[104:105]
	v_add_f64 v[108:109], v[118:119], v[116:117]
	v_fma_f64 v[114:115], v[94:95], s[28:29], v[126:127]
	v_add_f64 v[122:123], v[32:33], -v[12:13]
	v_add_f64 v[168:169], v[48:49], v[50:51]
	v_fma_f64 v[48:49], v[88:89], s[28:29], v[124:125]
	v_add_f64 v[46:47], v[86:87], v[46:47]
	v_fma_f64 v[50:51], v[94:95], s[28:29], -v[126:127]
	v_fma_f64 v[84:85], v[137:138], s[18:19], v[145:146]
	v_add_f64 v[94:95], v[52:53], v[4:5]
	v_fma_f64 v[86:87], v[147:148], s[18:19], -v[149:150]
	v_add_f64 v[126:127], v[34:35], v[14:15]
	v_add_f64 v[88:89], v[28:29], -v[16:17]
	v_add_f64 v[118:119], v[30:31], v[18:19]
	v_mul_f64 v[106:107], v[96:97], s[22:23]
	v_mul_f64 v[116:117], v[102:103], s[22:23]
	;; [unrolled: 1-line block ×3, first 2 shown]
	v_fma_f64 v[133:134], v[112:113], s[16:17], -v[161:162]
	v_add_f64 v[170:171], v[110:111], v[108:109]
	v_add_f64 v[174:175], v[114:115], v[104:105]
	v_mul_f64 v[110:111], v[90:91], s[0:1]
	v_mul_f64 v[114:115], v[98:99], s[0:1]
	v_add_f64 v[108:109], v[34:35], -v[14:15]
	v_add_f64 v[176:177], v[48:49], v[44:45]
	v_add_f64 v[178:179], v[50:51], v[46:47]
	;; [unrolled: 1-line block ×5, first 2 shown]
	v_mul_f64 v[131:132], v[122:123], s[24:25]
	v_add_f64 v[84:85], v[28:29], v[16:17]
	v_mul_f64 v[143:144], v[88:89], s[12:13]
	v_add_f64 v[86:87], v[24:25], v[20:21]
	v_mul_f64 v[157:158], v[122:123], s[36:37]
	v_mul_f64 v[153:154], v[88:89], s[38:39]
	v_fma_f64 v[46:47], v[94:95], s[14:15], v[110:111]
	v_fma_f64 v[50:51], v[112:113], s[14:15], -v[114:115]
	v_mul_f64 v[124:125], v[108:109], s[24:25]
	v_mul_f64 v[155:156], v[108:109], s[36:37]
	v_add_f64 v[44:45], v[46:47], v[44:45]
	v_add_f64 v[46:47], v[50:51], v[48:49]
	v_fma_f64 v[48:49], v[104:105], s[28:29], v[124:125]
	v_add_f64 v[44:45], v[48:49], v[44:45]
	v_fma_f64 v[48:49], v[126:127], s[28:29], -v[131:132]
	v_add_f64 v[46:47], v[48:49], v[46:47]
	v_fma_f64 v[48:49], v[84:85], s[16:17], v[139:140]
	v_add_f64 v[44:45], v[48:49], v[44:45]
	v_fma_f64 v[48:49], v[118:119], s[16:17], -v[143:144]
	;; [unrolled: 4-line block ×3, first 2 shown]
	v_add_f64 v[50:51], v[44:45], v[46:47]
	v_fma_f64 v[44:45], v[137:138], s[14:15], v[163:164]
	v_fma_f64 v[46:47], v[94:95], s[16:17], v[159:160]
	v_add_f64 v[44:45], v[8:9], v[44:45]
	v_add_f64 v[44:45], v[46:47], v[44:45]
	v_fma_f64 v[46:47], v[147:148], s[14:15], -v[165:166]
	v_add_f64 v[46:47], v[10:11], v[46:47]
	v_add_f64 v[46:47], v[133:134], v[46:47]
	v_fma_f64 v[133:134], v[104:105], s[26:27], v[155:156]
	v_add_f64 v[44:45], v[133:134], v[44:45]
	v_fma_f64 v[133:134], v[126:127], s[26:27], -v[157:158]
	v_add_f64 v[46:47], v[133:134], v[46:47]
	v_fma_f64 v[133:134], v[84:85], s[28:29], v[151:152]
	v_add_f64 v[44:45], v[133:134], v[44:45]
	v_fma_f64 v[133:134], v[118:119], s[28:29], -v[153:154]
	v_add_f64 v[46:47], v[133:134], v[46:47]
	v_mul_f64 v[133:134], v[96:97], s[30:31]
	v_fma_f64 v[141:142], v[86:87], s[18:19], v[133:134]
	v_add_f64 v[44:45], v[141:142], v[44:45]
	v_mul_f64 v[141:142], v[102:103], s[30:31]
	v_fma_f64 v[180:181], v[120:121], s[18:19], -v[141:142]
	v_add_f64 v[46:47], v[180:181], v[46:47]
	v_mov_b32_e32 v180, 4
	v_lshlrev_b32_sdwa v130, v180, v130 dst_sel:DWORD dst_unused:UNUSED_PAD src0_sel:DWORD src1_sel:WORD_0
	ds_write_b128 v130, v[36:39]
	ds_write_b128 v130, v[60:63] offset:16
	ds_write_b128 v130, v[68:71] offset:32
	;; [unrolled: 1-line block ×9, first 2 shown]
	v_add_co_u32 v70, s4, v182, 55
	v_add_co_ci_u32_e64 v36, null, 0, 0, s4
	buffer_store_dword v130, off, s[40:43], 0 offset:300 ; 4-byte Folded Spill
	v_mul_u32_u24_e32 v36, 11, v70
	ds_write_b128 v130, v[40:43] offset:160
	buffer_store_dword v36, off, s[40:43], 0 offset:644 ; 4-byte Folded Spill
	s_and_saveexec_b32 s33, vcc_lo
	s_cbranch_execz .LBB0_7
; %bb.6:
	v_add_f64 v[38:39], v[8:9], v[56:57]
	v_add_f64 v[36:37], v[10:11], v[58:59]
	v_mul_f64 v[40:41], v[92:93], s[12:13]
	v_mul_f64 v[42:43], v[92:93], s[24:25]
	s_mov_b32 s5, 0x3fe82f19
	s_mov_b32 s4, s12
	v_mul_f64 v[60:61], v[112:113], s[18:19]
	v_mul_f64 v[62:63], v[112:113], s[28:29]
	;; [unrolled: 1-line block ×6, first 2 shown]
	v_add_f64 v[38:39], v[38:39], v[52:53]
	v_add_f64 v[36:37], v[36:37], v[54:55]
	v_fma_f64 v[56:57], v[137:138], s[16:17], v[40:41]
	v_fma_f64 v[40:41], v[137:138], s[16:17], -v[40:41]
	v_fma_f64 v[58:59], v[137:138], s[28:29], -v[42:43]
	v_fma_f64 v[42:43], v[137:138], s[28:29], v[42:43]
	v_fma_f64 v[66:67], v[98:99], s[20:21], v[60:61]
	v_fma_f64 v[60:61], v[98:99], s[30:31], v[60:61]
	v_fma_f64 v[68:69], v[98:99], s[24:25], v[62:63]
	v_fma_f64 v[62:63], v[98:99], s[38:39], v[62:63]
	v_fma_f64 v[71:72], v[98:99], s[36:37], v[64:65]
	v_fma_f64 v[64:65], v[98:99], s[22:23], v[64:65]
	v_mul_f64 v[98:99], v[126:127], s[28:29]
	v_fma_f64 v[79:80], v[94:95], s[18:19], v[73:74]
	v_fma_f64 v[73:74], v[94:95], s[18:19], -v[73:74]
	v_fma_f64 v[81:82], v[94:95], s[28:29], v[75:76]
	v_fma_f64 v[75:76], v[94:95], s[28:29], -v[75:76]
	v_fma_f64 v[90:91], v[94:95], s[26:27], -v[77:78]
	v_fma_f64 v[77:78], v[94:95], s[26:27], v[77:78]
	v_add_f64 v[32:33], v[38:39], v[32:33]
	v_add_f64 v[34:35], v[36:37], v[34:35]
	v_mul_f64 v[38:39], v[92:93], s[22:23]
	v_mul_f64 v[36:37], v[147:148], s[28:29]
	v_add_f64 v[56:57], v[8:9], v[56:57]
	v_add_f64 v[58:59], v[8:9], v[58:59]
	;; [unrolled: 1-line block ×3, first 2 shown]
	v_mul_f64 v[92:93], v[126:127], s[26:27]
	v_add_f64 v[98:99], v[131:132], v[98:99]
	v_add_f64 v[28:29], v[32:33], v[28:29]
	;; [unrolled: 1-line block ×3, first 2 shown]
	v_mul_f64 v[32:33], v[137:138], s[18:19]
	v_fma_f64 v[54:55], v[137:138], s[26:27], v[38:39]
	v_fma_f64 v[38:39], v[137:138], s[26:27], -v[38:39]
	v_mul_f64 v[34:35], v[147:148], s[16:17]
	v_add_f64 v[56:57], v[81:82], v[56:57]
	v_add_f64 v[92:93], v[157:158], v[92:93]
	v_add_f64 v[24:25], v[28:29], v[24:25]
	v_add_f64 v[26:27], v[30:31], v[26:27]
	v_add_f64 v[32:33], v[32:33], -v[145:146]
	v_mul_f64 v[28:29], v[147:148], s[14:15]
	v_mul_f64 v[30:31], v[147:148], s[18:19]
	v_add_f64 v[54:55], v[8:9], v[54:55]
	v_add_f64 v[38:39], v[8:9], v[38:39]
	;; [unrolled: 1-line block ×3, first 2 shown]
	v_mul_f64 v[24:25], v[137:138], s[14:15]
	v_add_f64 v[22:23], v[26:27], v[22:23]
	v_mul_f64 v[26:27], v[147:148], s[26:27]
	v_add_f64 v[32:33], v[8:9], v[32:33]
	v_add_f64 v[28:29], v[165:166], v[28:29]
	;; [unrolled: 1-line block ×3, first 2 shown]
	v_mul_f64 v[137:138], v[108:109], s[20:21]
	v_add_f64 v[54:55], v[79:80], v[54:55]
	v_add_f64 v[38:39], v[73:74], v[38:39]
	v_mul_f64 v[73:74], v[120:121], s[18:19]
	v_add_f64 v[16:17], v[20:21], v[16:17]
	v_add_f64 v[24:25], v[24:25], -v[163:164]
	v_add_f64 v[18:19], v[22:23], v[18:19]
	v_fma_f64 v[52:53], v[135:136], s[36:37], v[26:27]
	v_fma_f64 v[26:27], v[135:136], s[22:23], v[26:27]
	;; [unrolled: 1-line block ×6, first 2 shown]
	v_add_f64 v[28:29], v[10:11], v[28:29]
	v_add_f64 v[30:31], v[10:11], v[30:31]
	v_fma_f64 v[147:148], v[104:105], s[18:19], v[137:138]
	v_fma_f64 v[137:138], v[104:105], s[18:19], -v[137:138]
	v_add_f64 v[73:74], v[141:142], v[73:74]
	v_add_f64 v[12:13], v[16:17], v[12:13]
	;; [unrolled: 1-line block ×4, first 2 shown]
	v_mul_f64 v[42:43], v[94:95], s[14:15]
	v_add_f64 v[14:15], v[18:19], v[14:15]
	v_mul_f64 v[18:19], v[112:113], s[14:15]
	v_add_f64 v[52:53], v[10:11], v[52:53]
	v_add_f64 v[26:27], v[10:11], v[26:27]
	;; [unrolled: 1-line block ×6, first 2 shown]
	v_mul_f64 v[36:37], v[112:113], s[16:17]
	v_mul_f64 v[112:113], v[126:127], s[16:17]
	;; [unrolled: 1-line block ×4, first 2 shown]
	v_add_f64 v[56:57], v[147:148], v[56:57]
	v_add_f64 v[4:5], v[12:13], v[4:5]
	v_mul_f64 v[12:13], v[86:87], s[26:27]
	v_add_f64 v[8:9], v[77:78], v[8:9]
	v_add_f64 v[42:43], v[42:43], -v[110:111]
	v_mul_f64 v[110:111], v[104:105], s[28:29]
	v_add_f64 v[18:19], v[114:115], v[18:19]
	v_mul_f64 v[114:115], v[126:127], s[18:19]
	v_add_f64 v[52:53], v[66:67], v[52:53]
	v_add_f64 v[26:27], v[60:61], v[26:27]
	;; [unrolled: 1-line block ×7, first 2 shown]
	v_add_f64 v[16:17], v[16:17], -v[159:160]
	v_mul_f64 v[60:61], v[118:119], s[26:27]
	v_mul_f64 v[64:65], v[118:119], s[18:19]
	;; [unrolled: 1-line block ×3, first 2 shown]
	v_add_f64 v[94:95], v[94:95], -v[155:156]
	v_mul_f64 v[71:72], v[100:101], s[20:21]
	v_mul_f64 v[77:78], v[120:121], s[26:27]
	v_add_f64 v[6:7], v[14:15], v[6:7]
	v_add_f64 v[0:1], v[4:5], v[0:1]
	v_add_f64 v[12:13], v[12:13], -v[106:107]
	v_add_f64 v[110:111], v[110:111], -v[124:125]
	v_mul_f64 v[124:125], v[126:127], s[14:15]
	v_fma_f64 v[126:127], v[122:123], s[4:5], v[112:113]
	v_fma_f64 v[112:113], v[122:123], s[12:13], v[112:113]
	;; [unrolled: 1-line block ×4, first 2 shown]
	v_add_f64 v[18:19], v[18:19], v[30:31]
	v_add_f64 v[30:31], v[42:43], v[32:33]
	;; [unrolled: 1-line block ×4, first 2 shown]
	v_mul_f64 v[36:37], v[118:119], s[14:15]
	v_mul_f64 v[40:41], v[100:101], s[34:35]
	v_add_f64 v[16:17], v[16:17], v[24:25]
	v_add_f64 v[24:25], v[90:91], v[58:59]
	v_mul_f64 v[42:43], v[120:121], s[28:29]
	v_mul_f64 v[75:76], v[86:87], s[18:19]
	;; [unrolled: 1-line block ×4, first 2 shown]
	v_add_f64 v[77:78], v[116:117], v[77:78]
	v_add_f64 v[2:3], v[6:7], v[2:3]
	v_fma_f64 v[135:136], v[122:123], s[34:35], v[124:125]
	v_fma_f64 v[122:123], v[122:123], s[0:1], v[124:125]
	v_mul_f64 v[124:125], v[108:109], s[12:13]
	v_mul_f64 v[108:109], v[108:109], s[34:35]
	v_add_f64 v[52:53], v[126:127], v[52:53]
	v_add_f64 v[26:27], v[112:113], v[26:27]
	;; [unrolled: 1-line block ×5, first 2 shown]
	v_fma_f64 v[62:63], v[88:89], s[0:1], v[36:37]
	v_fma_f64 v[66:67], v[84:85], s[14:15], v[40:41]
	v_fma_f64 v[36:37], v[88:89], s[34:35], v[36:37]
	v_fma_f64 v[40:41], v[84:85], s[14:15], -v[40:41]
	v_add_f64 v[14:15], v[110:111], v[30:31]
	v_add_f64 v[28:29], v[92:93], v[28:29]
	;; [unrolled: 1-line block ×3, first 2 shown]
	v_mul_f64 v[30:31], v[120:121], s[14:15]
	v_add_f64 v[32:33], v[137:138], v[32:33]
	v_fma_f64 v[79:80], v[102:103], s[38:39], v[42:43]
	v_fma_f64 v[42:43], v[102:103], s[24:25], v[42:43]
	v_add_f64 v[75:76], v[75:76], -v[133:134]
	v_fma_f64 v[81:82], v[86:87], s[28:29], v[58:59]
	v_add_f64 v[34:35], v[135:136], v[34:35]
	v_add_f64 v[10:11], v[122:123], v[10:11]
	v_fma_f64 v[145:146], v[104:105], s[16:17], v[124:125]
	v_fma_f64 v[124:125], v[104:105], s[16:17], -v[124:125]
	v_fma_f64 v[149:150], v[104:105], s[14:15], -v[108:109]
	v_fma_f64 v[104:105], v[104:105], s[14:15], v[108:109]
	v_mul_f64 v[108:109], v[118:119], s[28:29]
	v_fma_f64 v[58:59], v[86:87], s[28:29], -v[58:59]
	v_add_f64 v[52:53], v[62:63], v[52:53]
	v_fma_f64 v[62:63], v[88:89], s[36:37], v[60:61]
	v_fma_f64 v[60:61], v[88:89], s[22:23], v[60:61]
	v_add_f64 v[26:27], v[36:37], v[26:27]
	v_fma_f64 v[36:37], v[84:85], s[26:27], v[68:69]
	v_fma_f64 v[68:69], v[84:85], s[26:27], -v[68:69]
	v_add_f64 v[54:55], v[145:146], v[54:55]
	v_add_f64 v[38:39], v[124:125], v[38:39]
	;; [unrolled: 1-line block ×5, first 2 shown]
	v_mul_f64 v[153:154], v[84:85], s[28:29]
	v_add_f64 v[6:7], v[79:80], v[52:53]
	v_add_f64 v[62:63], v[62:63], v[20:21]
	;; [unrolled: 1-line block ×3, first 2 shown]
	v_fma_f64 v[60:61], v[102:103], s[4:5], v[90:91]
	v_add_f64 v[36:37], v[36:37], v[56:57]
	v_add_f64 v[32:33], v[68:69], v[32:33]
	;; [unrolled: 1-line block ×3, first 2 shown]
	v_fma_f64 v[66:67], v[88:89], s[20:21], v[64:65]
	v_add_f64 v[38:39], v[40:41], v[38:39]
	v_fma_f64 v[40:41], v[84:85], s[18:19], -v[71:72]
	v_fma_f64 v[71:72], v[84:85], s[18:19], v[71:72]
	v_add_f64 v[151:152], v[153:154], -v[151:152]
	v_mul_f64 v[153:154], v[118:119], s[16:17]
	v_fma_f64 v[64:65], v[88:89], s[30:31], v[64:65]
	v_mul_f64 v[88:89], v[96:97], s[34:35]
	v_add_f64 v[28:29], v[108:109], v[28:29]
	v_add_f64 v[4:5], v[81:82], v[54:55]
	v_add_f64 v[22:23], v[66:67], v[34:35]
	v_add_f64 v[40:41], v[40:41], v[24:25]
	v_add_f64 v[71:72], v[71:72], v[8:9]
	v_add_f64 v[16:17], v[151:152], v[16:17]
	v_add_f64 v[143:144], v[143:144], v[153:154]
	v_mul_f64 v[153:154], v[84:85], s[16:17]
	v_mul_f64 v[83:84], v[96:97], s[12:13]
	v_fma_f64 v[68:69], v[86:87], s[14:15], -v[88:89]
	v_fma_f64 v[88:89], v[86:87], s[14:15], v[88:89]
	v_add_f64 v[64:65], v[64:65], v[10:11]
	v_add_f64 v[10:11], v[42:43], v[26:27]
	;; [unrolled: 1-line block ×4, first 2 shown]
	v_add_f64 v[139:140], v[153:154], -v[139:140]
	v_fma_f64 v[18:19], v[102:103], s[12:13], v[90:91]
	v_fma_f64 v[66:67], v[86:87], s[16:17], -v[83:84]
	v_fma_f64 v[83:84], v[86:87], s[16:17], v[83:84]
	v_add_f64 v[26:27], v[77:78], v[34:35]
	v_add_f64 v[56:57], v[139:140], v[14:15]
	v_fma_f64 v[14:15], v[102:103], s[34:35], v[30:31]
	v_fma_f64 v[30:31], v[102:103], s[0:1], v[30:31]
	v_add_f64 v[18:19], v[18:19], v[22:23]
	v_add_f64 v[22:23], v[73:74], v[28:29]
	;; [unrolled: 1-line block ×4, first 2 shown]
	v_mul_u32_u24_e32 v36, 11, v70
	v_lshlrev_b32_e32 v36, 4, v36
	v_add_f64 v[24:25], v[12:13], v[56:57]
	v_add_f64 v[14:15], v[14:15], v[20:21]
	;; [unrolled: 1-line block ×7, first 2 shown]
	ds_write_b128 v36, v[0:3]
	ds_write_b128 v36, v[24:27] offset:16
	ds_write_b128 v36, v[20:23] offset:32
	;; [unrolled: 1-line block ×10, first 2 shown]
.LBB0_7:
	s_or_b32 exec_lo, exec_lo, s33
	s_waitcnt lgkmcnt(0)
	s_waitcnt_vscnt null, 0x0
	s_barrier
	buffer_gl0_inv
	ds_read_b128 v[12:15], v167
	ds_read_b128 v[8:11], v167 offset:880
	ds_read_b128 v[116:119], v167 offset:3696
	;; [unrolled: 1-line block ×19, first 2 shown]
	v_cmp_gt_u16_e64 s0, 11, v182
                                        ; implicit-def: $vgpr80_vgpr81
                                        ; implicit-def: $vgpr120_vgpr121
                                        ; implicit-def: $vgpr124_vgpr125
	s_and_saveexec_b32 s1, s0
	s_cbranch_execz .LBB0_9
; %bb.8:
	ds_read_b128 v[44:47], v167 offset:3520
	ds_read_b128 v[48:51], v167 offset:7216
	;; [unrolled: 1-line block ×5, first 2 shown]
.LBB0_9:
	s_or_b32 exec_lo, exec_lo, s1
	v_mov_b32_e32 v28, 0xba2f
	v_add_co_u32 v36, s1, 0xdc, v182
	v_mov_b32_e32 v72, 4
	v_add_co_ci_u32_e64 v37, null, 0, 0, s1
	v_mul_u32_u24_sdwa v28, v36, v28 dst_sel:DWORD dst_unused:UNUSED_PAD src0_sel:WORD_0 src1_sel:DWORD
	s_mov_b32 s14, 0x134454ff
	s_mov_b32 s15, 0x3fee6f0e
	;; [unrolled: 1-line block ×4, first 2 shown]
	v_lshrrev_b32_e32 v28, 19, v28
	s_mov_b32 s4, 0x4755a5e
	s_mov_b32 s5, 0x3fe2cf23
	;; [unrolled: 1-line block ×4, first 2 shown]
	v_mul_lo_u16 v28, v28, 11
	s_mov_b32 s18, 0x372fe950
	s_mov_b32 s19, 0x3fd3c6ef
	v_mov_b32_e32 v148, 55
	v_sub_nc_u16 v28, v36, v28
	buffer_store_dword v28, off, s[40:43], 0 offset:304 ; 4-byte Folded Spill
	v_lshlrev_b16 v28, 2, v28
	v_lshlrev_b32_sdwa v34, v72, v28 dst_sel:DWORD dst_unused:UNUSED_PAD src0_sel:DWORD src1_sel:WORD_0
	s_clause 0x2
	global_load_dwordx4 v[38:41], v34, s[2:3]
	global_load_dwordx4 v[73:76], v34, s[2:3] offset:16
	global_load_dwordx4 v[130:133], v34, s[2:3] offset:32
	s_waitcnt vmcnt(2) lgkmcnt(3)
	v_mul_f64 v[28:29], v[50:51], v[40:41]
	v_mul_f64 v[30:31], v[48:49], v[40:41]
	s_waitcnt vmcnt(1) lgkmcnt(2)
	v_mul_f64 v[32:33], v[80:81], v[75:76]
	v_fma_f64 v[28:29], v[48:49], v[38:39], -v[28:29]
	buffer_store_dword v38, off, s[40:43], 0 offset:648 ; 4-byte Folded Spill
	buffer_store_dword v39, off, s[40:43], 0 offset:652 ; 4-byte Folded Spill
	;; [unrolled: 1-line block ×4, first 2 shown]
	v_fma_f64 v[48:49], v[50:51], v[38:39], v[30:31]
	v_mul_f64 v[30:31], v[82:83], v[75:76]
	s_waitcnt vmcnt(0) lgkmcnt(1)
	v_mul_f64 v[38:39], v[120:121], v[132:133]
	v_fma_f64 v[30:31], v[80:81], v[73:74], -v[30:31]
	buffer_store_dword v73, off, s[40:43], 0 offset:664 ; 4-byte Folded Spill
	buffer_store_dword v74, off, s[40:43], 0 offset:668 ; 4-byte Folded Spill
	;; [unrolled: 1-line block ×4, first 2 shown]
	v_fma_f64 v[32:33], v[82:83], v[73:74], v[32:33]
	global_load_dwordx4 v[73:76], v34, s[2:3] offset:48
	v_mul_f64 v[34:35], v[122:123], v[132:133]
	v_fma_f64 v[34:35], v[120:121], v[130:131], -v[34:35]
	buffer_store_dword v130, off, s[40:43], 0 offset:680 ; 4-byte Folded Spill
	buffer_store_dword v131, off, s[40:43], 0 offset:684 ; 4-byte Folded Spill
	;; [unrolled: 1-line block ×4, first 2 shown]
	v_fma_f64 v[50:51], v[122:123], v[130:131], v[38:39]
	s_waitcnt vmcnt(0) lgkmcnt(0)
	v_mul_f64 v[38:39], v[126:127], v[75:76]
	v_fma_f64 v[42:43], v[124:125], v[73:74], -v[38:39]
	v_mul_f64 v[38:39], v[124:125], v[75:76]
	buffer_store_dword v73, off, s[40:43], 0 offset:696 ; 4-byte Folded Spill
	buffer_store_dword v74, off, s[40:43], 0 offset:700 ; 4-byte Folded Spill
	;; [unrolled: 1-line block ×4, first 2 shown]
	v_fma_f64 v[68:69], v[126:127], v[73:74], v[38:39]
	v_and_b32_e32 v38, 0xff, v182
	v_mul_lo_u16 v38, 0x75, v38
	v_lshrrev_b16 v38, 8, v38
	v_sub_nc_u16 v39, v182, v38
	v_lshrrev_b16 v39, 1, v39
	v_and_b32_e32 v39, 0x7f, v39
	v_add_nc_u16 v38, v39, v38
	v_lshrrev_b16 v140, 3, v38
	v_mul_lo_u16 v38, v140, 11
	v_sub_nc_u16 v38, v182, v38
	v_and_b32_e32 v141, 0xff, v38
	v_lshlrev_b32_e32 v40, 6, v141
	s_clause 0x1
	global_load_dwordx4 v[188:191], v40, s[2:3]
	global_load_dwordx4 v[79:82], v40, s[2:3] offset:16
	s_waitcnt vmcnt(1)
	v_mul_f64 v[38:39], v[118:119], v[190:191]
	v_fma_f64 v[73:74], v[116:117], v[188:189], -v[38:39]
	v_mul_f64 v[38:39], v[116:117], v[190:191]
	v_fma_f64 v[75:76], v[118:119], v[188:189], v[38:39]
	s_waitcnt vmcnt(0)
	v_mul_f64 v[38:39], v[114:115], v[81:82]
	v_fma_f64 v[77:78], v[112:113], v[79:80], -v[38:39]
	v_mul_f64 v[38:39], v[112:113], v[81:82]
	buffer_store_dword v79, off, s[40:43], 0 offset:436 ; 4-byte Folded Spill
	buffer_store_dword v80, off, s[40:43], 0 offset:440 ; 4-byte Folded Spill
	;; [unrolled: 1-line block ×4, first 2 shown]
	v_fma_f64 v[79:80], v[114:115], v[79:80], v[38:39]
	s_clause 0x1
	global_load_dwordx4 v[112:115], v40, s[2:3] offset:32
	global_load_dwordx4 v[196:199], v40, s[2:3] offset:48
	s_waitcnt vmcnt(1)
	v_mul_f64 v[38:39], v[110:111], v[114:115]
	v_fma_f64 v[81:82], v[108:109], v[112:113], -v[38:39]
	v_mul_f64 v[38:39], v[108:109], v[114:115]
	buffer_store_dword v112, off, s[40:43], 0 offset:452 ; 4-byte Folded Spill
	buffer_store_dword v113, off, s[40:43], 0 offset:456 ; 4-byte Folded Spill
	;; [unrolled: 1-line block ×4, first 2 shown]
	v_fma_f64 v[108:109], v[110:111], v[112:113], v[38:39]
	s_waitcnt vmcnt(0)
	v_mul_f64 v[38:39], v[106:107], v[198:199]
	v_fma_f64 v[110:111], v[104:105], v[196:197], -v[38:39]
	v_mul_f64 v[38:39], v[104:105], v[198:199]
	v_fma_f64 v[104:105], v[106:107], v[196:197], v[38:39]
	v_and_b32_e32 v38, 0xff, v70
	v_mul_lo_u16 v38, 0x75, v38
	v_lshrrev_b16 v38, 8, v38
	v_sub_nc_u16 v39, v70, v38
	v_lshrrev_b16 v39, 1, v39
	v_and_b32_e32 v39, 0x7f, v39
	v_add_nc_u16 v38, v39, v38
	v_lshrrev_b16 v142, 3, v38
	v_mul_lo_u16 v38, v142, 11
	v_sub_nc_u16 v38, v70, v38
	v_and_b32_e32 v143, 0xff, v38
	v_lshlrev_b32_e32 v40, 6, v143
	s_clause 0x1
	global_load_dwordx4 v[116:119], v40, s[2:3]
	global_load_dwordx4 v[112:115], v40, s[2:3] offset:16
	s_waitcnt vmcnt(1)
	v_mul_f64 v[38:39], v[102:103], v[118:119]
	v_fma_f64 v[106:107], v[100:101], v[116:117], -v[38:39]
	v_mul_f64 v[38:39], v[100:101], v[118:119]
	buffer_store_dword v116, off, s[40:43], 0 offset:628 ; 4-byte Folded Spill
	buffer_store_dword v117, off, s[40:43], 0 offset:632 ; 4-byte Folded Spill
	;; [unrolled: 1-line block ×4, first 2 shown]
	v_fma_f64 v[100:101], v[102:103], v[116:117], v[38:39]
	s_waitcnt vmcnt(0)
	v_mul_f64 v[38:39], v[98:99], v[114:115]
	v_fma_f64 v[102:103], v[96:97], v[112:113], -v[38:39]
	v_mul_f64 v[38:39], v[96:97], v[114:115]
	buffer_store_dword v112, off, s[40:43], 0 offset:516 ; 4-byte Folded Spill
	buffer_store_dword v113, off, s[40:43], 0 offset:520 ; 4-byte Folded Spill
	;; [unrolled: 1-line block ×4, first 2 shown]
	v_fma_f64 v[96:97], v[98:99], v[112:113], v[38:39]
	s_clause 0x1
	global_load_dwordx4 v[176:179], v40, s[2:3] offset:32
	global_load_dwordx4 v[112:115], v40, s[2:3] offset:48
	s_waitcnt vmcnt(1)
	v_mul_f64 v[38:39], v[94:95], v[178:179]
	v_fma_f64 v[98:99], v[92:93], v[176:177], -v[38:39]
	v_mul_f64 v[38:39], v[92:93], v[178:179]
	v_fma_f64 v[92:93], v[94:95], v[176:177], v[38:39]
	s_waitcnt vmcnt(0)
	v_mul_f64 v[38:39], v[90:91], v[114:115]
	v_fma_f64 v[94:95], v[88:89], v[112:113], -v[38:39]
	v_mul_f64 v[38:39], v[88:89], v[114:115]
	buffer_store_dword v112, off, s[40:43], 0 offset:564 ; 4-byte Folded Spill
	buffer_store_dword v113, off, s[40:43], 0 offset:568 ; 4-byte Folded Spill
	;; [unrolled: 1-line block ×4, first 2 shown]
	v_fma_f64 v[88:89], v[90:91], v[112:113], v[38:39]
	v_add_co_u32 v38, s1, 0x6e, v182
	v_add_co_ci_u32_e64 v39, null, 0, 0, s1
	v_and_b32_e32 v71, 0xff, v38
	v_mul_lo_u16 v40, 0x75, v71
	v_lshrrev_b16 v40, 8, v40
	v_sub_nc_u16 v41, v38, v40
	v_lshrrev_b16 v41, 1, v41
	v_and_b32_e32 v41, 0x7f, v41
	v_add_nc_u16 v40, v41, v40
	v_lshrrev_b16 v144, 3, v40
	v_mul_lo_u16 v40, v144, 11
	v_sub_nc_u16 v40, v38, v40
	v_and_b32_e32 v145, 0xff, v40
	v_lshlrev_b32_e32 v114, 6, v145
	s_clause 0x1
	global_load_dwordx4 v[192:195], v114, s[2:3]
	global_load_dwordx4 v[115:118], v114, s[2:3] offset:16
	s_waitcnt vmcnt(1)
	v_mul_f64 v[40:41], v[86:87], v[194:195]
	v_fma_f64 v[90:91], v[84:85], v[192:193], -v[40:41]
	v_mul_f64 v[40:41], v[84:85], v[194:195]
	v_fma_f64 v[83:84], v[86:87], v[192:193], v[40:41]
	s_waitcnt vmcnt(0)
	v_mul_f64 v[40:41], v[66:67], v[117:118]
	v_fma_f64 v[85:86], v[64:65], v[115:116], -v[40:41]
	v_mul_f64 v[40:41], v[64:65], v[117:118]
	buffer_store_dword v115, off, s[40:43], 0 offset:532 ; 4-byte Folded Spill
	buffer_store_dword v116, off, s[40:43], 0 offset:536 ; 4-byte Folded Spill
	;; [unrolled: 1-line block ×4, first 2 shown]
	v_fma_f64 v[112:113], v[66:67], v[115:116], v[40:41]
	s_clause 0x1
	global_load_dwordx4 v[116:119], v114, s[2:3] offset:32
	global_load_dwordx4 v[64:67], v114, s[2:3] offset:48
	s_waitcnt vmcnt(1)
	v_mul_f64 v[40:41], v[62:63], v[118:119]
	v_fma_f64 v[114:115], v[60:61], v[116:117], -v[40:41]
	v_mul_f64 v[40:41], v[60:61], v[118:119]
	buffer_store_dword v116, off, s[40:43], 0 offset:420 ; 4-byte Folded Spill
	buffer_store_dword v117, off, s[40:43], 0 offset:424 ; 4-byte Folded Spill
	buffer_store_dword v118, off, s[40:43], 0 offset:428 ; 4-byte Folded Spill
	buffer_store_dword v119, off, s[40:43], 0 offset:432 ; 4-byte Folded Spill
	v_fma_f64 v[116:117], v[62:63], v[116:117], v[40:41]
	s_waitcnt vmcnt(0)
	v_mul_f64 v[40:41], v[58:59], v[66:67]
	v_fma_f64 v[118:119], v[56:57], v[64:65], -v[40:41]
	v_mul_f64 v[40:41], v[56:57], v[66:67]
	buffer_store_dword v64, off, s[40:43], 0 offset:404 ; 4-byte Folded Spill
	buffer_store_dword v65, off, s[40:43], 0 offset:408 ; 4-byte Folded Spill
	;; [unrolled: 1-line block ×4, first 2 shown]
	v_fma_f64 v[120:121], v[58:59], v[64:65], v[40:41]
	v_add_co_u32 v40, s1, 0xa5, v182
	v_add_co_ci_u32_e64 v41, null, 0, 0, s1
	v_and_b32_e32 v56, 0xff, v40
	v_mul_lo_u16 v56, 0x75, v56
	v_lshrrev_b16 v56, 8, v56
	v_sub_nc_u16 v57, v40, v56
	v_lshrrev_b16 v57, 1, v57
	v_and_b32_e32 v57, 0x7f, v57
	v_add_nc_u16 v56, v57, v56
	v_lshrrev_b16 v146, 3, v56
	v_mul_lo_u16 v56, v146, 11
	v_sub_nc_u16 v56, v40, v56
	v_and_b32_e32 v147, 0xff, v56
	v_lshlrev_b32_e32 v58, 6, v147
	s_clause 0x1
	global_load_dwordx4 v[63:66], v58, s[2:3]
	global_load_dwordx4 v[59:62], v58, s[2:3] offset:16
	s_waitcnt vmcnt(1)
	v_mul_f64 v[56:57], v[54:55], v[65:66]
	v_fma_f64 v[122:123], v[52:53], v[63:64], -v[56:57]
	v_mul_f64 v[52:53], v[52:53], v[65:66]
	buffer_store_dword v63, off, s[40:43], 0 offset:468 ; 4-byte Folded Spill
	buffer_store_dword v64, off, s[40:43], 0 offset:472 ; 4-byte Folded Spill
	;; [unrolled: 1-line block ×4, first 2 shown]
	v_add_f64 v[56:57], v[30:31], -v[34:35]
	v_add_f64 v[66:67], v[108:109], -v[104:105]
	v_fma_f64 v[124:125], v[54:55], v[63:64], v[52:53]
	s_waitcnt vmcnt(0)
	v_mul_f64 v[52:53], v[26:27], v[61:62]
	v_add_f64 v[64:65], v[81:82], -v[110:111]
	v_fma_f64 v[126:127], v[24:25], v[59:60], -v[52:53]
	v_mul_f64 v[24:25], v[24:25], v[61:62]
	buffer_store_dword v59, off, s[40:43], 0 offset:324 ; 4-byte Folded Spill
	buffer_store_dword v60, off, s[40:43], 0 offset:328 ; 4-byte Folded Spill
	;; [unrolled: 1-line block ×4, first 2 shown]
	v_fma_f64 v[130:131], v[26:27], v[59:60], v[24:25]
	s_clause 0x1
	global_load_dwordx4 v[59:62], v58, s[2:3] offset:32
	global_load_dwordx4 v[52:55], v58, s[2:3] offset:48
	v_add_f64 v[26:27], v[32:33], -v[50:51]
	s_waitcnt vmcnt(1)
	v_mul_f64 v[24:25], v[22:23], v[61:62]
	v_fma_f64 v[132:133], v[20:21], v[59:60], -v[24:25]
	v_mul_f64 v[20:21], v[20:21], v[61:62]
	buffer_store_dword v59, off, s[40:43], 0 offset:356 ; 4-byte Folded Spill
	buffer_store_dword v60, off, s[40:43], 0 offset:360 ; 4-byte Folded Spill
	;; [unrolled: 1-line block ×4, first 2 shown]
	v_add_f64 v[24:25], v[48:49], -v[68:69]
	v_add_f64 v[62:63], v[79:80], -v[75:76]
	v_fma_f64 v[134:135], v[22:23], v[59:60], v[20:21]
	s_waitcnt vmcnt(0)
	v_mul_f64 v[20:21], v[18:19], v[54:55]
	v_add_f64 v[22:23], v[32:33], v[50:51]
	v_add_f64 v[60:61], v[77:78], -v[73:74]
	v_fma_f64 v[136:137], v[16:17], v[52:53], -v[20:21]
	v_mul_f64 v[16:17], v[16:17], v[54:55]
	buffer_store_dword v52, off, s[40:43], 0 offset:340 ; 4-byte Folded Spill
	buffer_store_dword v53, off, s[40:43], 0 offset:344 ; 4-byte Folded Spill
	;; [unrolled: 1-line block ×4, first 2 shown]
	v_add_f64 v[20:21], v[68:69], -v[50:51]
	v_fma_f64 v[22:23], v[22:23], -0.5, v[46:47]
	v_add_f64 v[54:55], v[28:29], -v[42:43]
	v_fma_f64 v[58:59], v[54:55], s[16:17], v[22:23]
	v_fma_f64 v[22:23], v[54:55], s[14:15], v[22:23]
	;; [unrolled: 1-line block ×5, first 2 shown]
	v_add_f64 v[16:17], v[28:29], -v[30:31]
	v_add_f64 v[18:19], v[42:43], -v[34:35]
	v_add_f64 v[16:17], v[16:17], v[18:19]
	v_add_f64 v[18:19], v[48:49], -v[32:33]
	v_add_f64 v[18:19], v[18:19], v[20:21]
	v_add_f64 v[20:21], v[30:31], v[34:35]
	v_fma_f64 v[242:243], v[18:19], s[18:19], v[58:59]
	v_fma_f64 v[20:21], v[20:21], -0.5, v[44:45]
	v_fma_f64 v[18:19], v[18:19], s[18:19], v[22:23]
	v_add_f64 v[22:23], v[48:49], v[68:69]
	v_add_f64 v[58:59], v[77:78], -v[81:82]
	v_fma_f64 v[52:53], v[24:25], s[14:15], v[20:21]
	v_fma_f64 v[20:21], v[24:25], s[16:17], v[20:21]
	v_fma_f64 v[22:23], v[22:23], -0.5, v[46:47]
	v_fma_f64 v[52:53], v[26:27], s[4:5], v[52:53]
	v_fma_f64 v[20:21], v[26:27], s[12:13], v[20:21]
	;; [unrolled: 1-line block ×4, first 2 shown]
	buffer_store_dword v16, off, s[40:43], 0 ; 4-byte Folded Spill
	buffer_store_dword v17, off, s[40:43], 0 offset:4 ; 4-byte Folded Spill
	buffer_store_dword v18, off, s[40:43], 0 offset:8 ; 4-byte Folded Spill
	;; [unrolled: 1-line block ×3, first 2 shown]
	v_add_f64 v[16:17], v[30:31], -v[28:29]
	v_add_f64 v[18:19], v[34:35], -v[42:43]
	;; [unrolled: 1-line block ×3, first 2 shown]
	v_add_f64 v[16:17], v[16:17], v[18:19]
	v_add_f64 v[18:19], v[28:29], v[42:43]
	v_fma_f64 v[18:19], v[18:19], -0.5, v[44:45]
	v_fma_f64 v[20:21], v[26:27], s[16:17], v[18:19]
	v_fma_f64 v[18:19], v[26:27], s[14:15], v[18:19]
	v_fma_f64 v[26:27], v[56:57], s[14:15], v[22:23]
	v_fma_f64 v[22:23], v[56:57], s[16:17], v[22:23]
	v_add_f64 v[56:57], v[50:51], -v[68:69]
	v_fma_f64 v[20:21], v[24:25], s[4:5], v[20:21]
	v_fma_f64 v[18:19], v[24:25], s[12:13], v[18:19]
	;; [unrolled: 1-line block ×4, first 2 shown]
	v_add_f64 v[52:53], v[52:53], v[56:57]
	v_fma_f64 v[54:55], v[16:17], s[18:19], v[20:21]
	v_fma_f64 v[16:17], v[16:17], s[18:19], v[18:19]
	;; [unrolled: 1-line block ×4, first 2 shown]
	buffer_store_dword v54, off, s[40:43], 0 offset:16 ; 4-byte Folded Spill
	buffer_store_dword v55, off, s[40:43], 0 offset:20 ; 4-byte Folded Spill
	buffer_store_dword v56, off, s[40:43], 0 offset:24 ; 4-byte Folded Spill
	buffer_store_dword v57, off, s[40:43], 0 offset:28 ; 4-byte Folded Spill
	buffer_store_dword v16, off, s[40:43], 0 offset:32 ; 4-byte Folded Spill
	buffer_store_dword v17, off, s[40:43], 0 offset:36 ; 4-byte Folded Spill
	buffer_store_dword v18, off, s[40:43], 0 offset:40 ; 4-byte Folded Spill
	buffer_store_dword v19, off, s[40:43], 0 offset:44 ; 4-byte Folded Spill
	v_add_f64 v[16:17], v[73:74], -v[77:78]
	v_add_f64 v[18:19], v[110:111], -v[81:82]
	;; [unrolled: 1-line block ×5, first 2 shown]
	s_waitcnt_vscnt null, 0x0
	s_barrier
	buffer_gl0_inv
	v_add_f64 v[20:21], v[16:17], v[18:19]
	v_add_f64 v[16:17], v[75:76], -v[79:80]
	v_add_f64 v[18:19], v[104:105], -v[108:109]
	v_add_f64 v[22:23], v[16:17], v[18:19]
	v_add_f64 v[16:17], v[77:78], v[81:82]
	v_fma_f64 v[24:25], v[16:17], -0.5, v[12:13]
	v_add_f64 v[16:17], v[79:80], v[108:109]
	v_fma_f64 v[26:27], v[16:17], -0.5, v[14:15]
	v_fma_f64 v[16:17], v[52:53], s[14:15], v[24:25]
	v_fma_f64 v[24:25], v[52:53], s[16:17], v[24:25]
	;; [unrolled: 1-line block ×10, first 2 shown]
	v_add_f64 v[24:25], v[73:74], v[110:111]
	v_fma_f64 v[18:19], v[22:23], s[18:19], v[18:19]
	v_fma_f64 v[22:23], v[22:23], s[18:19], v[26:27]
	v_add_f64 v[26:27], v[75:76], v[104:105]
	v_fma_f64 v[24:25], v[24:25], -0.5, v[12:13]
	v_add_f64 v[12:13], v[12:13], v[73:74]
	v_fma_f64 v[26:27], v[26:27], -0.5, v[14:15]
	v_add_f64 v[14:15], v[14:15], v[75:76]
	v_fma_f64 v[73:74], v[54:55], s[16:17], v[24:25]
	v_fma_f64 v[24:25], v[54:55], s[14:15], v[24:25]
	v_add_f64 v[12:13], v[12:13], v[77:78]
	v_add_f64 v[77:78], v[106:107], -v[94:95]
	v_add_f64 v[75:76], v[96:97], -v[92:93]
	v_fma_f64 v[54:55], v[58:59], s[14:15], v[26:27]
	v_fma_f64 v[26:27], v[58:59], s[16:17], v[26:27]
	v_add_f64 v[58:59], v[60:61], v[64:65]
	v_add_f64 v[60:61], v[62:63], v[66:67]
	v_fma_f64 v[62:63], v[52:53], s[4:5], v[73:74]
	v_fma_f64 v[52:53], v[52:53], s[12:13], v[24:25]
	v_add_f64 v[14:15], v[14:15], v[79:80]
	v_add_f64 v[73:74], v[100:101], -v[88:89]
	v_add_f64 v[79:80], v[102:103], -v[98:99]
	v_add_f64 v[12:13], v[12:13], v[81:82]
	v_add_f64 v[81:82], v[102:103], -v[106:107]
	v_fma_f64 v[54:55], v[56:57], s[12:13], v[54:55]
	v_fma_f64 v[56:57], v[56:57], s[4:5], v[26:27]
	;; [unrolled: 1-line block ×4, first 2 shown]
	v_add_f64 v[58:59], v[94:95], -v[98:99]
	v_add_f64 v[14:15], v[14:15], v[108:109]
	v_add_f64 v[12:13], v[12:13], v[110:111]
	v_add_f64 v[109:110], v[126:127], -v[122:123]
	v_fma_f64 v[26:27], v[60:61], s[18:19], v[54:55]
	v_fma_f64 v[54:55], v[60:61], s[18:19], v[56:57]
	v_add_f64 v[56:57], v[106:107], -v[102:103]
	v_add_f64 v[14:15], v[14:15], v[104:105]
	v_add_f64 v[60:61], v[56:57], v[58:59]
	v_add_f64 v[56:57], v[100:101], -v[96:97]
	v_add_f64 v[58:59], v[88:89], -v[92:93]
	v_add_f64 v[62:63], v[56:57], v[58:59]
	v_add_f64 v[56:57], v[102:103], v[98:99]
	v_fma_f64 v[64:65], v[56:57], -0.5, v[8:9]
	v_add_f64 v[56:57], v[96:97], v[92:93]
	v_fma_f64 v[66:67], v[56:57], -0.5, v[10:11]
	v_fma_f64 v[56:57], v[73:74], s[14:15], v[64:65]
	v_fma_f64 v[64:65], v[73:74], s[16:17], v[64:65]
	;; [unrolled: 1-line block ×10, first 2 shown]
	v_add_f64 v[64:65], v[106:107], v[94:95]
	v_fma_f64 v[58:59], v[62:63], s[18:19], v[58:59]
	v_fma_f64 v[62:63], v[62:63], s[18:19], v[66:67]
	v_add_f64 v[66:67], v[100:101], v[88:89]
	v_fma_f64 v[64:65], v[64:65], -0.5, v[8:9]
	v_add_f64 v[8:9], v[8:9], v[106:107]
	v_add_f64 v[105:106], v[122:123], -v[136:137]
	v_add_f64 v[107:108], v[126:127], -v[132:133]
	v_fma_f64 v[66:67], v[66:67], -0.5, v[10:11]
	v_add_f64 v[10:11], v[10:11], v[100:101]
	v_add_f64 v[8:9], v[8:9], v[102:103]
	;; [unrolled: 1-line block ×3, first 2 shown]
	v_add_f64 v[96:97], v[96:97], -v[100:101]
	v_add_f64 v[8:9], v[8:9], v[98:99]
	v_add_f64 v[98:99], v[98:99], -v[94:95]
	v_add_f64 v[100:101], v[116:117], -v[120:121]
	v_add_f64 v[10:11], v[10:11], v[92:93]
	v_add_f64 v[8:9], v[8:9], v[94:95]
	v_add_f64 v[94:95], v[112:113], -v[116:117]
	v_add_f64 v[10:11], v[10:11], v[88:89]
	v_add_f64 v[87:88], v[92:93], -v[88:89]
	v_fma_f64 v[92:93], v[75:76], s[16:17], v[64:65]
	v_fma_f64 v[64:65], v[75:76], s[14:15], v[64:65]
	;; [unrolled: 1-line block ×4, first 2 shown]
	v_add_f64 v[79:80], v[81:82], v[98:99]
	v_add_f64 v[98:99], v[85:86], -v[114:115]
	v_add_f64 v[81:82], v[96:97], v[87:88]
	v_fma_f64 v[87:88], v[73:74], s[4:5], v[92:93]
	v_fma_f64 v[73:74], v[73:74], s[12:13], v[64:65]
	v_fma_f64 v[75:76], v[77:78], s[12:13], v[75:76]
	v_fma_f64 v[77:78], v[77:78], s[4:5], v[66:67]
	v_add_f64 v[92:93], v[83:84], -v[120:121]
	v_add_f64 v[96:97], v[90:91], -v[118:119]
	v_fma_f64 v[64:65], v[79:80], s[18:19], v[87:88]
	v_fma_f64 v[73:74], v[79:80], s[18:19], v[73:74]
	;; [unrolled: 1-line block ×4, first 2 shown]
	v_mul_u32_u24_sdwa v77, v140, v148 dst_sel:DWORD dst_unused:UNUSED_PAD src0_sel:WORD_0 src1_sel:DWORD
	v_add_lshl_u32 v140, v77, v141, 4
	ds_write_b128 v140, v[12:15]
	v_add_f64 v[12:13], v[90:91], -v[85:86]
	v_add_f64 v[14:15], v[118:119], -v[114:115]
	ds_write_b128 v140, v[16:19] offset:176
	ds_write_b128 v140, v[24:27] offset:352
	;; [unrolled: 1-line block ×3, first 2 shown]
	v_mul_u32_u24_sdwa v16, v142, v148 dst_sel:DWORD dst_unused:UNUSED_PAD src0_sel:WORD_0 src1_sel:DWORD
	buffer_store_dword v140, off, s[40:43], 0 offset:308 ; 4-byte Folded Spill
	ds_write_b128 v140, v[20:23] offset:704
	v_add_lshl_u32 v16, v16, v143, 4
	ds_write_b128 v16, v[8:11]
	ds_write_b128 v16, v[56:59] offset:176
	ds_write_b128 v16, v[64:67] offset:352
	;; [unrolled: 1-line block ×3, first 2 shown]
	v_mul_u32_u24_sdwa v8, v144, v148 dst_sel:DWORD dst_unused:UNUSED_PAD src0_sel:WORD_0 src1_sel:DWORD
	buffer_store_dword v16, off, s[40:43], 0 offset:320 ; 4-byte Folded Spill
	ds_write_b128 v16, v[60:63] offset:704
	v_add_lshl_u32 v8, v8, v145, 4
	v_add_f64 v[77:78], v[12:13], v[14:15]
	v_add_f64 v[12:13], v[83:84], -v[112:113]
	v_add_f64 v[14:15], v[120:121], -v[116:117]
	v_add_f64 v[79:80], v[12:13], v[14:15]
	v_add_f64 v[12:13], v[85:86], v[114:115]
	v_fma_f64 v[81:82], v[12:13], -0.5, v[4:5]
	v_add_f64 v[12:13], v[112:113], v[116:117]
	v_fma_f64 v[87:88], v[12:13], -0.5, v[6:7]
	v_fma_f64 v[12:13], v[92:93], s[14:15], v[81:82]
	v_fma_f64 v[81:82], v[92:93], s[16:17], v[81:82]
	;; [unrolled: 1-line block ×10, first 2 shown]
	v_add_f64 v[81:82], v[90:91], v[118:119]
	v_fma_f64 v[14:15], v[79:80], s[18:19], v[14:15]
	v_fma_f64 v[79:80], v[79:80], s[18:19], v[87:88]
	v_add_f64 v[87:88], v[83:84], v[120:121]
	v_fma_f64 v[81:82], v[81:82], -0.5, v[4:5]
	v_add_f64 v[4:5], v[4:5], v[90:91]
	v_add_f64 v[89:90], v[85:86], -v[90:91]
	v_fma_f64 v[87:88], v[87:88], -0.5, v[6:7]
	v_add_f64 v[6:7], v[6:7], v[83:84]
	v_add_f64 v[83:84], v[112:113], -v[83:84]
	v_add_f64 v[4:5], v[4:5], v[85:86]
	v_add_f64 v[85:86], v[114:115], -v[118:119]
	v_fma_f64 v[102:103], v[94:95], s[16:17], v[81:82]
	v_fma_f64 v[81:82], v[94:95], s[14:15], v[81:82]
	v_fma_f64 v[94:95], v[98:99], s[14:15], v[87:88]
	v_fma_f64 v[87:88], v[98:99], s[16:17], v[87:88]
	v_add_f64 v[6:7], v[6:7], v[112:113]
	v_add_f64 v[4:5], v[4:5], v[114:115]
	;; [unrolled: 1-line block ×4, first 2 shown]
	v_fma_f64 v[83:84], v[92:93], s[4:5], v[102:103]
	v_fma_f64 v[91:92], v[92:93], s[12:13], v[81:82]
	v_add_f64 v[101:102], v[124:125], -v[138:139]
	v_add_f64 v[103:104], v[130:131], -v[134:135]
	;; [unrolled: 1-line block ×4, first 2 shown]
	v_fma_f64 v[93:94], v[96:97], s[12:13], v[94:95]
	v_fma_f64 v[87:88], v[96:97], s[4:5], v[87:88]
	v_add_f64 v[6:7], v[6:7], v[116:117]
	v_add_f64 v[4:5], v[4:5], v[118:119]
	v_add_f64 v[115:116], v[134:135], -v[138:139]
	v_fma_f64 v[81:82], v[85:86], s[18:19], v[83:84]
	v_fma_f64 v[85:86], v[85:86], s[18:19], v[91:92]
	v_add_f64 v[91:92], v[136:137], -v[132:133]
	v_fma_f64 v[83:84], v[89:90], s[18:19], v[93:94]
	v_fma_f64 v[87:88], v[89:90], s[18:19], v[87:88]
	v_add_f64 v[89:90], v[122:123], -v[126:127]
	v_add_f64 v[6:7], v[6:7], v[120:121]
	ds_write_b128 v8, v[4:7]
	ds_write_b128 v8, v[12:15] offset:176
	ds_write_b128 v8, v[81:84] offset:352
	;; [unrolled: 1-line block ×3, first 2 shown]
	v_add_f64 v[93:94], v[89:90], v[91:92]
	v_add_f64 v[89:90], v[124:125], -v[130:131]
	v_add_f64 v[91:92], v[138:139], -v[134:135]
	v_mul_u32_u24_sdwa v4, v146, v148 dst_sel:DWORD dst_unused:UNUSED_PAD src0_sel:WORD_0 src1_sel:DWORD
	buffer_store_dword v8, off, s[40:43], 0 offset:316 ; 4-byte Folded Spill
	ds_write_b128 v8, v[77:80] offset:704
	v_add_lshl_u32 v4, v4, v147, 4
	v_add_f64 v[95:96], v[89:90], v[91:92]
	v_add_f64 v[89:90], v[126:127], v[132:133]
	v_fma_f64 v[97:98], v[89:90], -0.5, v[0:1]
	v_add_f64 v[89:90], v[130:131], v[134:135]
	v_fma_f64 v[99:100], v[89:90], -0.5, v[2:3]
	v_fma_f64 v[89:90], v[101:102], s[14:15], v[97:98]
	v_fma_f64 v[97:98], v[101:102], s[16:17], v[97:98]
	v_fma_f64 v[91:92], v[105:106], s[16:17], v[99:100]
	v_fma_f64 v[99:100], v[105:106], s[14:15], v[99:100]
	v_fma_f64 v[89:90], v[103:104], s[4:5], v[89:90]
	v_fma_f64 v[97:98], v[103:104], s[12:13], v[97:98]
	v_fma_f64 v[91:92], v[107:108], s[12:13], v[91:92]
	v_fma_f64 v[99:100], v[107:108], s[4:5], v[99:100]
	v_fma_f64 v[89:90], v[93:94], s[18:19], v[89:90]
	v_fma_f64 v[93:94], v[93:94], s[18:19], v[97:98]
	v_add_f64 v[97:98], v[122:123], v[136:137]
	v_fma_f64 v[91:92], v[95:96], s[18:19], v[91:92]
	v_fma_f64 v[95:96], v[95:96], s[18:19], v[99:100]
	v_add_f64 v[99:100], v[124:125], v[138:139]
	v_fma_f64 v[97:98], v[97:98], -0.5, v[0:1]
	v_add_f64 v[0:1], v[0:1], v[122:123]
	v_fma_f64 v[99:100], v[99:100], -0.5, v[2:3]
	v_add_f64 v[2:3], v[2:3], v[124:125]
	v_fma_f64 v[117:118], v[103:104], s[16:17], v[97:98]
	v_add_f64 v[0:1], v[0:1], v[126:127]
	v_fma_f64 v[97:98], v[103:104], s[14:15], v[97:98]
	v_fma_f64 v[103:104], v[107:108], s[14:15], v[99:100]
	v_add_f64 v[2:3], v[2:3], v[130:131]
	v_fma_f64 v[99:100], v[107:108], s[16:17], v[99:100]
	v_add_f64 v[0:1], v[0:1], v[132:133]
	v_add_f64 v[107:108], v[109:110], v[113:114]
	;; [unrolled: 1-line block ×3, first 2 shown]
	v_fma_f64 v[111:112], v[101:102], s[4:5], v[117:118]
	v_fma_f64 v[101:102], v[101:102], s[12:13], v[97:98]
	;; [unrolled: 1-line block ×3, first 2 shown]
	v_add_f64 v[2:3], v[2:3], v[134:135]
	v_fma_f64 v[105:106], v[105:106], s[4:5], v[99:100]
	v_add_f64 v[0:1], v[0:1], v[136:137]
	v_fma_f64 v[97:98], v[107:108], s[18:19], v[111:112]
	v_fma_f64 v[101:102], v[107:108], s[18:19], v[101:102]
	;; [unrolled: 1-line block ×3, first 2 shown]
	v_add_f64 v[2:3], v[2:3], v[138:139]
	v_fma_f64 v[103:104], v[109:110], s[18:19], v[105:106]
	ds_write_b128 v4, v[0:3]
	ds_write_b128 v4, v[89:92] offset:176
	ds_write_b128 v4, v[97:100] offset:352
	;; [unrolled: 1-line block ×3, first 2 shown]
	buffer_store_dword v4, off, s[40:43], 0 offset:312 ; 4-byte Folded Spill
	ds_write_b128 v4, v[93:96] offset:704
	s_and_saveexec_b32 s1, s0
	s_cbranch_execz .LBB0_11
; %bb.10:
	v_add_f64 v[0:1], v[46:47], v[48:49]
	v_add_f64 v[2:3], v[44:45], v[28:29]
	;; [unrolled: 1-line block ×8, first 2 shown]
	buffer_load_dword v4, off, s[40:43], 0 offset:304 ; 4-byte Folded Reload
	s_waitcnt vmcnt(0)
	v_lshlrev_b32_sdwa v4, v72, v4 dst_sel:DWORD dst_unused:UNUSED_PAD src0_sel:DWORD src1_sel:WORD_0
	ds_write_b128 v4, v[240:243] offset:17776
	s_clause 0x3
	buffer_load_dword v5, off, s[40:43], 0 offset:16
	buffer_load_dword v6, off, s[40:43], 0 offset:20
	;; [unrolled: 1-line block ×4, first 2 shown]
	s_waitcnt vmcnt(0)
	ds_write_b128 v4, v[5:8] offset:17952
	s_clause 0x3
	buffer_load_dword v5, off, s[40:43], 0 offset:32
	buffer_load_dword v6, off, s[40:43], 0 offset:36
	;; [unrolled: 1-line block ×4, first 2 shown]
	s_waitcnt vmcnt(0)
	ds_write_b128 v4, v[5:8] offset:18128
	ds_write_b128 v4, v[0:3] offset:17600
	s_clause 0x3
	buffer_load_dword v0, off, s[40:43], 0
	buffer_load_dword v1, off, s[40:43], 0 offset:4
	buffer_load_dword v2, off, s[40:43], 0 offset:8
	;; [unrolled: 1-line block ×3, first 2 shown]
	s_waitcnt vmcnt(0)
	ds_write_b128 v4, v[0:3] offset:18304
.LBB0_11:
	s_or_b32 exec_lo, exec_lo, s1
	v_mad_u64_u32 v[0:1], null, 0x60, v182, s[2:3]
	s_waitcnt lgkmcnt(0)
	s_waitcnt_vscnt null, 0x0
	s_barrier
	buffer_gl0_inv
	s_mov_b32 s4, 0xaaaaaaaa
	s_mov_b32 s5, 0xbff2aaaa
	;; [unrolled: 1-line block ×3, first 2 shown]
	s_clause 0x5
	global_load_dwordx4 v[60:63], v[0:1], off offset:704
	global_load_dwordx4 v[52:55], v[0:1], off offset:720
	global_load_dwordx4 v[48:51], v[0:1], off offset:736
	global_load_dwordx4 v[44:47], v[0:1], off offset:752
	global_load_dwordx4 v[64:67], v[0:1], off offset:768
	global_load_dwordx4 v[56:59], v[0:1], off offset:784
	v_mul_lo_u16 v0, 0x95, v71
	s_mov_b32 s21, 0xbfe11646
	s_mov_b32 s14, 0x36b3c0b5
	;; [unrolled: 1-line block ×4, first 2 shown]
	v_lshrrev_b16 v0, 13, v0
	s_mov_b32 s15, 0x3fac98ee
	s_mov_b32 s19, 0x3febfeb5
	;; [unrolled: 1-line block ×4, first 2 shown]
	v_mul_lo_u16 v0, v0, 55
	s_mov_b32 s12, 0x37c3f68c
	s_mov_b32 s26, 0xb247c609
	;; [unrolled: 1-line block ×4, first 2 shown]
	v_sub_nc_u16 v0, v38, v0
	s_mov_b32 s25, 0xbfe77f67
	s_mov_b32 s27, 0x3fd5d0dc
	;; [unrolled: 1-line block ×4, first 2 shown]
	v_and_b32_e32 v42, 0xff, v0
	s_mov_b32 s24, s16
	v_lshlrev_b32_e32 v43, 5, v182
	v_mad_u64_u32 v[68:69], null, 0x60, v42, s[2:3]
	v_lshlrev_b32_e32 v166, 4, v42
	s_clause 0x1
	global_load_dwordx4 v[121:124], v[68:69], off offset:704
	global_load_dwordx4 v[130:133], v[68:69], off offset:720
	ds_read_b128 v[0:3], v167 offset:2640
	ds_read_b128 v[4:7], v167 offset:5280
	;; [unrolled: 1-line block ×14, first 2 shown]
	s_waitcnt vmcnt(7) lgkmcnt(13)
	v_mul_f64 v[91:92], v[2:3], v[62:63]
	v_mul_f64 v[93:94], v[0:1], v[62:63]
	s_waitcnt vmcnt(5) lgkmcnt(11)
	v_mul_f64 v[99:100], v[10:11], v[50:51]
	v_mul_f64 v[101:102], v[8:9], v[50:51]
	;; [unrolled: 1-line block ×4, first 2 shown]
	s_waitcnt vmcnt(4) lgkmcnt(10)
	v_mul_f64 v[103:104], v[14:15], v[46:47]
	v_mul_f64 v[105:106], v[12:13], v[46:47]
	s_waitcnt vmcnt(3) lgkmcnt(9)
	v_mul_f64 v[107:108], v[18:19], v[66:67]
	v_mul_f64 v[109:110], v[16:17], v[66:67]
	s_waitcnt lgkmcnt(6)
	v_mul_f64 v[115:116], v[30:31], v[62:63]
	s_waitcnt vmcnt(2)
	v_mul_f64 v[111:112], v[22:23], v[58:59]
	v_mul_f64 v[113:114], v[20:21], v[58:59]
	v_fma_f64 v[91:92], v[0:1], v[60:61], -v[91:92]
	v_fma_f64 v[93:94], v[2:3], v[60:61], v[93:94]
	ds_read_b128 v[0:3], v167 offset:8800
	v_fma_f64 v[99:100], v[8:9], v[48:49], -v[99:100]
	v_fma_f64 v[101:102], v[10:11], v[48:49], v[101:102]
	v_mul_f64 v[8:9], v[28:29], v[62:63]
	s_waitcnt lgkmcnt(6)
	v_mul_f64 v[10:11], v[34:35], v[54:55]
	v_fma_f64 v[95:96], v[4:5], v[52:53], -v[95:96]
	v_fma_f64 v[97:98], v[6:7], v[52:53], v[97:98]
	ds_read_b128 v[4:7], v167 offset:9680
	v_fma_f64 v[12:13], v[12:13], v[44:45], -v[103:104]
	v_fma_f64 v[14:15], v[14:15], v[44:45], v[105:106]
	v_mul_f64 v[103:104], v[32:33], v[54:55]
	v_fma_f64 v[16:17], v[16:17], v[64:65], -v[107:108]
	v_fma_f64 v[18:19], v[18:19], v[64:65], v[109:110]
	s_waitcnt lgkmcnt(5)
	v_mul_f64 v[109:110], v[77:78], v[46:47]
	v_fma_f64 v[20:21], v[20:21], v[56:57], -v[111:112]
	v_mul_f64 v[111:112], v[75:76], v[46:47]
	v_fma_f64 v[22:23], v[22:23], v[56:57], v[113:114]
	v_fma_f64 v[28:29], v[28:29], v[60:61], -v[115:116]
	s_waitcnt lgkmcnt(1)
	v_mul_f64 v[105:106], v[2:3], v[50:51]
	v_mul_f64 v[107:108], v[0:1], v[50:51]
	v_fma_f64 v[30:31], v[30:31], v[60:61], v[8:9]
	v_fma_f64 v[32:33], v[32:33], v[52:53], -v[10:11]
	ds_read_b128 v[8:11], v167 offset:14080
	v_fma_f64 v[34:35], v[34:35], v[52:53], v[103:104]
	v_fma_f64 v[109:110], v[75:76], v[44:45], -v[109:110]
	v_fma_f64 v[111:112], v[77:78], v[44:45], v[111:112]
	v_mul_f64 v[77:78], v[81:82], v[58:59]
	v_fma_f64 v[103:104], v[0:1], v[48:49], -v[105:106]
	v_fma_f64 v[105:106], v[2:3], v[48:49], v[107:108]
	ds_read_b128 v[0:3], v167 offset:14960
	s_waitcnt lgkmcnt(1)
	v_mul_f64 v[107:108], v[10:11], v[66:67]
	v_mul_f64 v[75:76], v[8:9], v[66:67]
	v_fma_f64 v[115:116], v[79:80], v[56:57], -v[77:78]
	v_add_f64 v[140:141], v[103:104], v[109:110]
	v_add_f64 v[148:149], v[105:106], v[111:112]
	v_fma_f64 v[107:108], v[8:9], v[64:65], -v[107:108]
	v_mul_f64 v[8:9], v[79:80], v[58:59]
	v_fma_f64 v[113:114], v[10:11], v[64:65], v[75:76]
	s_waitcnt vmcnt(0)
	v_mul_f64 v[75:76], v[73:74], v[132:133]
	v_mul_f64 v[10:11], v[83:84], v[123:124]
	v_add_f64 v[79:80], v[91:92], v[20:21]
	v_add_f64 v[136:137], v[28:29], v[115:116]
	;; [unrolled: 1-line block ×3, first 2 shown]
	v_fma_f64 v[117:118], v[81:82], v[56:57], v[8:9]
	v_mul_f64 v[8:9], v[85:86], v[123:124]
	v_add_f64 v[81:82], v[99:100], v[12:13]
	v_add_f64 v[146:147], v[34:35], v[113:114]
	;; [unrolled: 1-line block ×3, first 2 shown]
	v_fma_f64 v[119:120], v[83:84], v[121:122], -v[8:9]
	buffer_store_dword v121, off, s[40:43], 0 offset:372 ; 4-byte Folded Spill
	buffer_store_dword v122, off, s[40:43], 0 offset:376 ; 4-byte Folded Spill
	;; [unrolled: 1-line block ×4, first 2 shown]
	v_mul_f64 v[8:9], v[71:72], v[132:133]
	v_fma_f64 v[123:124], v[71:72], v[130:131], -v[75:76]
	buffer_store_dword v130, off, s[40:43], 0 offset:388 ; 4-byte Folded Spill
	buffer_store_dword v131, off, s[40:43], 0 offset:392 ; 4-byte Folded Spill
	;; [unrolled: 1-line block ×4, first 2 shown]
	s_clause 0x3
	global_load_dwordx4 v[204:207], v[68:69], off offset:736
	global_load_dwordx4 v[200:203], v[68:69], off offset:752
	;; [unrolled: 1-line block ×4, first 2 shown]
	v_add_f64 v[71:72], v[95:96], v[16:17]
	v_add_f64 v[83:84], v[93:94], v[22:23]
	;; [unrolled: 1-line block ×3, first 2 shown]
	v_fma_f64 v[121:122], v[85:86], v[121:122], v[10:11]
	v_add_f64 v[85:86], v[101:102], v[14:15]
	v_fma_f64 v[125:126], v[73:74], v[130:131], v[8:9]
	s_waitcnt vmcnt(3)
	v_mul_f64 v[8:9], v[6:7], v[206:207]
	v_fma_f64 v[130:131], v[4:5], v[204:205], -v[8:9]
	v_mul_f64 v[4:5], v[4:5], v[206:207]
	v_add_f64 v[8:9], v[138:139], v[136:137]
	v_fma_f64 v[132:133], v[6:7], v[204:205], v[4:5]
	s_waitcnt vmcnt(2)
	v_mul_f64 v[4:5], v[89:90], v[202:203]
	v_add_f64 v[142:143], v[140:141], v[8:9]
	v_add_f64 v[8:9], v[146:147], v[144:145]
	v_fma_f64 v[134:135], v[87:88], v[200:201], -v[4:5]
	v_mul_f64 v[4:5], v[87:88], v[202:203]
	v_add_f64 v[150:151], v[148:149], v[8:9]
	v_add_f64 v[164:165], v[130:131], v[134:135]
	v_fma_f64 v[87:88], v[89:90], v[200:201], v[4:5]
	s_waitcnt vmcnt(1) lgkmcnt(0)
	v_mul_f64 v[4:5], v[2:3], v[214:215]
	v_add_f64 v[174:175], v[132:133], v[87:88]
	v_fma_f64 v[68:69], v[0:1], v[212:213], -v[4:5]
	v_mul_f64 v[0:1], v[0:1], v[214:215]
	v_add_f64 v[162:163], v[123:124], v[68:69]
	v_fma_f64 v[89:90], v[2:3], v[212:213], v[0:1]
	v_add_f64 v[0:1], v[71:72], v[79:80]
	v_add_f64 v[68:69], v[123:124], -v[68:69]
	v_add_f64 v[172:173], v[125:126], v[89:90]
	v_add_f64 v[73:74], v[81:82], v[0:1]
	;; [unrolled: 1-line block ×4, first 2 shown]
	ds_read_b128 v[0:3], v167
	ds_read_b128 v[4:7], v167 offset:880
	ds_read_b128 v[8:11], v167 offset:17600
	s_waitcnt vmcnt(0) lgkmcnt(0)
	s_waitcnt_vscnt null, 0x0
	s_barrier
	buffer_gl0_inv
	v_add_f64 v[0:1], v[0:1], v[73:74]
	v_add_f64 v[4:5], v[4:5], v[142:143]
	v_mul_f64 v[152:153], v[10:11], v[210:211]
	v_add_f64 v[2:3], v[2:3], v[77:78]
	v_add_f64 v[6:7], v[6:7], v[150:151]
	v_fma_f64 v[156:157], v[73:74], s[4:5], v[0:1]
	v_fma_f64 v[142:143], v[142:143], s[4:5], v[4:5]
	v_fma_f64 v[152:153], v[8:9], v[208:209], -v[152:153]
	v_mul_f64 v[8:9], v[8:9], v[210:211]
	ds_write_b128 v167, v[0:3]
	v_fma_f64 v[150:151], v[150:151], s[4:5], v[6:7]
	ds_write_b128 v167, v[4:7] offset:6160
	v_add_f64 v[4:5], v[95:96], -v[16:17]
	v_add_f64 v[6:7], v[12:13], -v[99:100]
	v_fma_f64 v[158:159], v[77:78], s[4:5], v[2:3]
	v_add_f64 v[12:13], v[14:15], -v[101:102]
	v_add_f64 v[14:15], v[93:94], -v[22:23]
	v_add_f64 v[16:17], v[71:72], -v[79:80]
	v_add_f64 v[79:80], v[79:80], -v[81:82]
	v_add_f64 v[22:23], v[85:86], -v[75:76]
	v_add_f64 v[160:161], v[119:120], v[152:153]
	v_fma_f64 v[154:155], v[10:11], v[208:209], v[8:9]
	v_add_f64 v[8:9], v[91:92], -v[20:21]
	v_add_f64 v[10:11], v[97:98], -v[18:19]
	;; [unrolled: 1-line block ×5, first 2 shown]
	v_add_f64 v[0:1], v[162:163], v[160:161]
	v_add_f64 v[170:171], v[121:122], v[154:155]
	;; [unrolled: 1-line block ×3, first 2 shown]
	v_add_f64 v[73:74], v[12:13], -v[10:11]
	v_add_f64 v[10:11], v[10:11], -v[14:15]
	;; [unrolled: 1-line block ×3, first 2 shown]
	v_mul_f64 v[83:84], v[81:82], s[22:23]
	v_add_f64 v[168:169], v[164:165], v[0:1]
	v_add_f64 v[0:1], v[172:173], v[170:171]
	v_add_f64 v[91:92], v[71:72], v[14:15]
	v_mul_f64 v[93:94], v[73:74], s[20:21]
	v_mul_f64 v[71:72], v[18:19], s[14:15]
	;; [unrolled: 1-line block ×4, first 2 shown]
	v_add_f64 v[180:181], v[174:175], v[0:1]
	v_add_f64 v[0:1], v[24:25], v[168:169]
	;; [unrolled: 1-line block ×3, first 2 shown]
	v_fma_f64 v[71:72], v[16:17], s[16:17], -v[71:72]
	v_fma_f64 v[73:74], v[20:21], s[16:17], -v[73:74]
	v_add_f64 v[2:3], v[26:27], v[180:181]
	v_add_f64 v[26:27], v[6:7], -v[4:5]
	v_add_f64 v[4:5], v[4:5], -v[8:9]
	v_add_f64 v[24:25], v[24:25], v[8:9]
	v_add_f64 v[6:7], v[8:9], -v[6:7]
	v_mul_f64 v[8:9], v[10:11], s[18:19]
	v_add_f64 v[95:96], v[71:72], v[156:157]
	v_add_f64 v[97:98], v[73:74], v[158:159]
	v_mul_f64 v[26:27], v[26:27], s[20:21]
	v_fma_f64 v[8:9], v[12:13], s[28:29], -v[8:9]
	v_fma_f64 v[75:76], v[4:5], s[18:19], -v[26:27]
	v_mul_f64 v[4:5], v[4:5], s[18:19]
	v_fma_f64 v[8:9], v[91:92], s[12:13], v[8:9]
	v_fma_f64 v[77:78], v[24:25], s[12:13], v[75:76]
	v_fma_f64 v[75:76], v[10:11], s[18:19], -v[93:94]
	v_fma_f64 v[4:5], v[6:7], s[28:29], -v[4:5]
	v_fma_f64 v[10:11], v[16:17], s[24:25], -v[14:15]
	v_fma_f64 v[16:17], v[20:21], s[24:25], -v[83:84]
	v_add_f64 v[20:21], v[109:110], -v[103:104]
	v_add_f64 v[73:74], v[77:78], v[97:98]
	v_fma_f64 v[75:76], v[91:92], s[12:13], v[75:76]
	v_fma_f64 v[4:5], v[24:25], s[12:13], v[4:5]
	v_add_f64 v[10:11], v[10:11], v[156:157]
	v_add_f64 v[16:17], v[16:17], v[158:159]
	v_add_f64 v[77:78], v[97:98], -v[77:78]
	v_add_f64 v[71:72], v[95:96], -v[75:76]
	v_add_f64 v[75:76], v[75:76], v[95:96]
	v_add_f64 v[79:80], v[8:9], v[10:11]
	v_add_f64 v[81:82], v[16:17], -v[4:5]
	v_add_f64 v[8:9], v[10:11], -v[8:9]
	v_add_f64 v[10:11], v[4:5], v[16:17]
	v_fma_f64 v[4:5], v[6:7], s[26:27], v[26:27]
	v_fma_f64 v[6:7], v[12:13], s[26:27], v[93:94]
	;; [unrolled: 1-line block ×4, first 2 shown]
	v_add_f64 v[22:23], v[28:29], -v[115:116]
	v_add_f64 v[26:27], v[30:31], -v[117:118]
	;; [unrolled: 1-line block ×4, first 2 shown]
	v_fma_f64 v[16:17], v[24:25], s[12:13], v[4:5]
	v_fma_f64 v[4:5], v[91:92], s[12:13], v[6:7]
	v_add_f64 v[6:7], v[12:13], v[156:157]
	v_add_f64 v[12:13], v[14:15], v[158:159]
	v_add_f64 v[14:15], v[34:35], -v[113:114]
	v_add_f64 v[24:25], v[111:112], -v[105:106]
	;; [unrolled: 1-line block ×3, first 2 shown]
	v_add_f64 v[83:84], v[4:5], v[6:7]
	v_add_f64 v[85:86], v[12:13], -v[16:17]
	v_add_f64 v[4:5], v[6:7], -v[4:5]
	v_add_f64 v[6:7], v[16:17], v[12:13]
	v_add_f64 v[12:13], v[32:33], -v[107:108]
	v_add_f64 v[93:94], v[24:25], -v[14:15]
	;; [unrolled: 1-line block ×6, first 2 shown]
	ds_write_b128 v167, v[83:86] offset:880
	ds_write_b128 v167, v[79:82] offset:1760
	;; [unrolled: 1-line block ×3, first 2 shown]
	v_add_f64 v[71:72], v[134:135], -v[130:131]
	v_add_f64 v[73:74], v[119:120], -v[152:153]
	;; [unrolled: 1-line block ×3, first 2 shown]
	v_add_f64 v[16:17], v[20:21], v[12:13]
	v_add_f64 v[91:92], v[12:13], -v[22:23]
	v_add_f64 v[12:13], v[24:25], v[14:15]
	v_mul_f64 v[93:94], v[93:94], s[20:21]
	v_mul_f64 v[14:15], v[34:35], s[14:15]
	v_add_f64 v[79:80], v[125:126], -v[89:90]
	v_add_f64 v[81:82], v[87:88], -v[132:133]
	;; [unrolled: 1-line block ×6, first 2 shown]
	ds_write_b128 v167, v[75:78] offset:3520
	ds_write_b128 v167, v[8:11] offset:4400
	buffer_store_dword v182, off, s[40:43], 0 offset:120 ; 4-byte Folded Spill
	v_mul_f64 v[101:102], v[18:19], s[20:21]
	v_add_f64 v[97:98], v[16:17], v[22:23]
	v_mul_f64 v[20:21], v[91:92], s[18:19]
	v_add_f64 v[99:100], v[12:13], v[26:27]
	v_mul_f64 v[12:13], v[30:31], s[14:15]
	v_fma_f64 v[14:15], v[32:33], s[16:17], -v[14:15]
	v_mul_f64 v[22:23], v[95:96], s[18:19]
	v_mul_f64 v[89:90], v[89:90], s[22:23]
	v_fma_f64 v[16:17], v[91:92], s[18:19], -v[101:102]
	v_fma_f64 v[20:21], v[107:108], s[28:29], -v[20:21]
	;; [unrolled: 1-line block ×3, first 2 shown]
	v_add_f64 v[105:106], v[14:15], v[150:151]
	v_fma_f64 v[22:23], v[109:110], s[28:29], -v[22:23]
	v_fma_f64 v[18:19], v[97:98], s[12:13], v[16:17]
	v_fma_f64 v[16:17], v[95:96], s[18:19], -v[93:94]
	v_add_f64 v[103:104], v[12:13], v[142:143]
	v_add_f64 v[14:15], v[18:19], v[105:106]
	v_fma_f64 v[16:17], v[99:100], s[12:13], v[16:17]
	v_add_f64 v[18:19], v[105:106], -v[18:19]
	v_add_f64 v[105:106], v[144:145], -v[148:149]
	;; [unrolled: 1-line block ×3, first 2 shown]
	v_add_f64 v[16:17], v[16:17], v[103:104]
	v_add_f64 v[103:104], v[136:137], -v[140:141]
	v_mul_f64 v[95:96], v[105:106], s[22:23]
	v_mul_f64 v[91:92], v[103:104], s[22:23]
	v_fma_f64 v[26:27], v[32:33], s[24:25], -v[95:96]
	v_fma_f64 v[34:35], v[34:35], s[14:15], v[95:96]
	v_add_f64 v[95:96], v[170:171], -v[174:175]
	v_fma_f64 v[24:25], v[28:29], s[24:25], -v[91:92]
	v_fma_f64 v[28:29], v[97:98], s[12:13], v[20:21]
	v_fma_f64 v[20:21], v[99:100], s[12:13], v[22:23]
	v_add_f64 v[32:33], v[26:27], v[150:151]
	v_fma_f64 v[30:31], v[30:31], s[14:15], v[91:92]
	v_add_f64 v[22:23], v[24:25], v[142:143]
	v_add_f64 v[26:27], v[32:33], -v[28:29]
	v_add_f64 v[30:31], v[30:31], v[142:143]
	v_add_f64 v[24:25], v[20:21], v[22:23]
	v_add_f64 v[20:21], v[22:23], -v[20:21]
	v_add_f64 v[22:23], v[28:29], v[32:33]
	v_fma_f64 v[28:29], v[107:108], s[26:27], v[101:102]
	v_fma_f64 v[32:33], v[109:110], s[26:27], v[93:94]
	v_add_f64 v[101:102], v[81:82], -v[79:80]
	v_add_f64 v[93:94], v[34:35], v[150:151]
	v_fma_f64 v[91:92], v[97:98], s[12:13], v[28:29]
	v_add_f64 v[97:98], v[71:72], v[68:69]
	v_fma_f64 v[28:29], v[99:100], s[12:13], v[32:33]
	v_add_f64 v[99:100], v[71:72], -v[68:69]
	v_add_f64 v[68:69], v[68:69], -v[73:74]
	;; [unrolled: 1-line block ×4, first 2 shown]
	v_add_f64 v[73:74], v[97:98], v[73:74]
	v_add_f64 v[97:98], v[81:82], v[79:80]
	v_add_f64 v[79:80], v[79:80], -v[83:84]
	v_add_f64 v[81:82], v[83:84], -v[81:82]
	v_add_f64 v[32:33], v[28:29], v[30:31]
	v_add_f64 v[28:29], v[30:31], -v[28:29]
	v_add_f64 v[30:31], v[91:92], v[93:94]
	v_add_f64 v[93:94], v[174:175], -v[172:173]
	v_add_f64 v[91:92], v[172:173], -v[170:171]
	v_add_f64 v[83:84], v[97:98], v[83:84]
	v_mul_f64 v[97:98], v[99:100], s[20:21]
	v_mul_f64 v[99:100], v[68:69], s[18:19]
	v_fma_f64 v[68:69], v[68:69], s[18:19], -v[97:98]
	v_fma_f64 v[99:100], v[71:72], s[28:29], -v[99:100]
	v_fma_f64 v[71:72], v[71:72], s[26:27], v[97:98]
	v_mul_f64 v[97:98], v[101:102], s[20:21]
	v_mul_f64 v[101:102], v[79:80], s[18:19]
	v_fma_f64 v[99:100], v[73:74], s[12:13], v[99:100]
	v_fma_f64 v[103:104], v[73:74], s[12:13], v[71:72]
	v_fma_f64 v[79:80], v[79:80], s[18:19], -v[97:98]
	v_fma_f64 v[101:102], v[81:82], s[28:29], -v[101:102]
	v_fma_f64 v[81:82], v[81:82], s[26:27], v[97:98]
	v_mul_f64 v[97:98], v[87:88], s[14:15]
	v_fma_f64 v[87:88], v[87:88], s[14:15], v[89:90]
	v_fma_f64 v[71:72], v[168:169], s[4:5], v[0:1]
	v_fma_f64 v[97:98], v[85:86], s[16:17], -v[97:98]
	v_fma_f64 v[85:86], v[85:86], s[24:25], -v[89:90]
	v_mul_f64 v[89:90], v[95:96], s[22:23]
	v_mul_f64 v[95:96], v[93:94], s[14:15]
	v_fma_f64 v[95:96], v[91:92], s[16:17], -v[95:96]
	v_fma_f64 v[91:92], v[91:92], s[24:25], -v[89:90]
	v_fma_f64 v[89:90], v[93:94], s[14:15], v[89:90]
	v_fma_f64 v[93:94], v[73:74], s[12:13], v[68:69]
	;; [unrolled: 1-line block ×5, first 2 shown]
	v_add_f64 v[73:74], v[97:98], v[71:72]
	v_add_f64 v[81:82], v[85:86], v[71:72]
	;; [unrolled: 1-line block ×3, first 2 shown]
	v_fma_f64 v[71:72], v[180:181], s[4:5], v[2:3]
	s_mov_b32 s5, 0xbfebb67a
	v_add_f64 v[8:9], v[73:74], -v[68:69]
	v_add_f64 v[68:69], v[68:69], v[73:74]
	v_add_f64 v[76:77], v[81:82], -v[79:80]
	v_add_f64 v[88:89], v[89:90], v[71:72]
	v_add_f64 v[91:92], v[91:92], v[71:72]
	;; [unrolled: 1-line block ×3, first 2 shown]
	v_lshlrev_b32_e32 v90, 5, v70
	v_add_f64 v[72:73], v[79:80], v[81:82]
	v_add_f64 v[80:81], v[101:102], v[84:85]
	v_add_co_u32 v95, s1, s2, v43
	v_add_co_ci_u32_e64 v96, null, s3, 0, s1
	v_add_f64 v[84:85], v[84:85], -v[101:102]
	v_add_f64 v[82:83], v[88:89], -v[103:104]
	;; [unrolled: 1-line block ×3, first 2 shown]
	v_add_f64 v[10:11], v[93:94], v[86:87]
	v_add_f64 v[70:71], v[86:87], -v[93:94]
	v_add_f64 v[78:79], v[99:100], v[91:92]
	v_add_co_u32 v92, s1, s2, v90
	v_add_f64 v[86:87], v[103:104], v[88:89]
	v_add_co_ci_u32_e64 v93, null, s3, 0, s1
	v_add_co_u32 v88, s1, 0x1000, v95
	v_add_co_ci_u32_e64 v89, s1, 0, v96, s1
	ds_write_b128 v167, v[4:7] offset:5280
	ds_write_b128 v167, v[32:35] offset:7040
	;; [unrolled: 1-line block ×14, first 2 shown]
	s_waitcnt lgkmcnt(0)
	s_waitcnt_vscnt null, 0x0
	s_barrier
	buffer_gl0_inv
	global_load_dwordx4 v[72:75], v[88:89], off offset:1888
	v_add_co_u32 v90, s1, 0x1760, v95
	v_lshlrev_b64 v[2:3], 5, v[38:39]
	v_add_co_ci_u32_e64 v91, s1, 0, v96, s1
	v_add_co_u32 v0, s1, 0x1000, v92
	v_add_co_ci_u32_e64 v1, s1, 0, v93, s1
	v_add_co_u32 v4, s1, s2, v2
	v_add_co_ci_u32_e64 v5, s1, s3, v3, s1
	global_load_dwordx4 v[80:83], v[0:1], off offset:1888
	v_add_co_u32 v0, s1, 0x1760, v92
	v_add_co_ci_u32_e64 v1, s1, 0, v93, s1
	v_add_co_u32 v2, s1, 0x1000, v4
	v_add_co_ci_u32_e64 v3, s1, 0, v5, s1
	s_clause 0x2
	global_load_dwordx4 v[68:71], v[90:91], off offset:16
	global_load_dwordx4 v[84:87], v[0:1], off offset:16
	;; [unrolled: 1-line block ×3, first 2 shown]
	v_add_co_u32 v0, s1, 0x1760, v4
	v_add_co_ci_u32_e64 v1, s1, 0, v5, s1
	global_load_dwordx4 v[88:91], v[0:1], off offset:16
	v_lshlrev_b64 v[0:1], 5, v[40:41]
	v_add_co_u32 v2, s1, s2, v0
	v_add_co_ci_u32_e64 v3, s1, s3, v1, s1
	v_add_co_u32 v0, s1, 0x1000, v2
	v_add_co_ci_u32_e64 v1, s1, 0, v3, s1
	global_load_dwordx4 v[180:183], v[0:1], off offset:1888
	v_add_co_u32 v0, s1, 0x1760, v2
	v_add_co_ci_u32_e64 v1, s1, 0, v3, s1
	global_load_dwordx4 v[184:187], v[0:1], off offset:16
	ds_read_b128 v[0:3], v167 offset:6160
	ds_read_b128 v[4:7], v167 offset:12320
	;; [unrolled: 1-line block ×6, first 2 shown]
	s_waitcnt vmcnt(7) lgkmcnt(5)
	v_mul_f64 v[20:21], v[2:3], v[74:75]
	v_mul_f64 v[22:23], v[0:1], v[74:75]
	s_waitcnt vmcnt(6) lgkmcnt(3)
	v_mul_f64 v[32:33], v[10:11], v[82:83]
	v_mul_f64 v[34:35], v[8:9], v[82:83]
	v_fma_f64 v[20:21], v[0:1], v[72:73], -v[20:21]
	buffer_store_dword v72, off, s[40:43], 0 offset:500 ; 4-byte Folded Spill
	buffer_store_dword v73, off, s[40:43], 0 offset:504 ; 4-byte Folded Spill
	;; [unrolled: 1-line block ×4, first 2 shown]
	s_waitcnt vmcnt(5)
	v_mul_f64 v[24:25], v[6:7], v[70:71]
	v_mul_f64 v[26:27], v[4:5], v[70:71]
	s_waitcnt vmcnt(4) lgkmcnt(1)
	v_mul_f64 v[38:39], v[14:15], v[86:87]
	v_mul_f64 v[40:41], v[12:13], v[86:87]
	v_fma_f64 v[24:25], v[4:5], v[68:69], -v[24:25]
	buffer_store_dword v68, off, s[40:43], 0 offset:484 ; 4-byte Folded Spill
	buffer_store_dword v69, off, s[40:43], 0 offset:488 ; 4-byte Folded Spill
	;; [unrolled: 1-line block ×4, first 2 shown]
	v_fma_f64 v[12:13], v[12:13], v[84:85], -v[38:39]
	s_waitcnt vmcnt(3) lgkmcnt(0)
	v_mul_f64 v[70:71], v[16:17], v[78:79]
	v_fma_f64 v[22:23], v[2:3], v[72:73], v[22:23]
	v_fma_f64 v[72:73], v[8:9], v[80:81], -v[32:33]
	buffer_store_dword v80, off, s[40:43], 0 offset:580 ; 4-byte Folded Spill
	buffer_store_dword v81, off, s[40:43], 0 offset:584 ; 4-byte Folded Spill
	;; [unrolled: 1-line block ×4, first 2 shown]
	ds_read_b128 v[0:3], v167 offset:14080
	buffer_store_dword v84, off, s[40:43], 0 offset:596 ; 4-byte Folded Spill
	buffer_store_dword v85, off, s[40:43], 0 offset:600 ; 4-byte Folded Spill
	;; [unrolled: 1-line block ×4, first 2 shown]
	s_waitcnt vmcnt(2) lgkmcnt(0)
	v_mul_f64 v[8:9], v[2:3], v[90:91]
	v_fma_f64 v[26:27], v[6:7], v[68:69], v[26:27]
	v_mul_f64 v[68:69], v[18:19], v[78:79]
	ds_read_b128 v[4:7], v167 offset:14960
	v_fma_f64 v[16:17], v[16:17], v[76:77], -v[68:69]
	buffer_store_dword v76, off, s[40:43], 0 offset:548 ; 4-byte Folded Spill
	buffer_store_dword v77, off, s[40:43], 0 offset:552 ; 4-byte Folded Spill
	;; [unrolled: 1-line block ×4, first 2 shown]
	v_fma_f64 v[74:75], v[10:11], v[80:81], v[34:35]
	v_mul_f64 v[10:11], v[0:1], v[90:91]
	v_fma_f64 v[14:15], v[14:15], v[84:85], v[40:41]
	v_fma_f64 v[84:85], v[0:1], v[88:89], -v[8:9]
	buffer_store_dword v88, off, s[40:43], 0 offset:612 ; 4-byte Folded Spill
	buffer_store_dword v89, off, s[40:43], 0 offset:616 ; 4-byte Folded Spill
	;; [unrolled: 1-line block ×4, first 2 shown]
	v_fma_f64 v[18:19], v[18:19], v[76:77], v[70:71]
	v_fma_f64 v[80:81], v[2:3], v[88:89], v[10:11]
	ds_read_b128 v[0:3], v167 offset:8800
	ds_read_b128 v[8:11], v167 offset:9680
	s_waitcnt vmcnt(1) lgkmcnt(1)
	v_mul_f64 v[32:33], v[2:3], v[182:183]
	v_fma_f64 v[96:97], v[0:1], v[180:181], -v[32:33]
	v_mul_f64 v[0:1], v[0:1], v[182:183]
	v_fma_f64 v[92:93], v[2:3], v[180:181], v[0:1]
	s_waitcnt vmcnt(0)
	v_mul_f64 v[0:1], v[6:7], v[186:187]
	v_fma_f64 v[98:99], v[4:5], v[184:185], -v[0:1]
	v_mul_f64 v[0:1], v[4:5], v[186:187]
	v_fma_f64 v[94:95], v[6:7], v[184:185], v[0:1]
	v_lshlrev_b64 v[0:1], 5, v[36:37]
	v_add_co_u32 v2, s1, s2, v0
	v_add_co_ci_u32_e64 v3, s1, s3, v1, s1
	v_add_co_u32 v0, s1, 0x1000, v2
	v_add_co_ci_u32_e64 v1, s1, 0, v3, s1
	;; [unrolled: 2-line block ×3, first 2 shown]
	s_clause 0x1
	global_load_dwordx4 v[220:223], v[0:1], off offset:1888
	global_load_dwordx4 v[216:219], v[2:3], off offset:16
	s_waitcnt vmcnt(1) lgkmcnt(0)
	v_mul_f64 v[0:1], v[10:11], v[222:223]
	v_fma_f64 v[100:101], v[8:9], v[220:221], -v[0:1]
	v_mul_f64 v[0:1], v[8:9], v[222:223]
	v_fma_f64 v[102:103], v[10:11], v[220:221], v[0:1]
	ds_read_b128 v[0:3], v167 offset:15840
	ds_read_b128 v[4:7], v167 offset:16720
	s_waitcnt vmcnt(0) lgkmcnt(1)
	v_mul_f64 v[8:9], v[2:3], v[218:219]
	v_fma_f64 v[104:105], v[0:1], v[216:217], -v[8:9]
	v_mul_f64 v[0:1], v[0:1], v[218:219]
	v_fma_f64 v[106:107], v[2:3], v[216:217], v[0:1]
	v_add_nc_u32_e32 v0, 0x2260, v43
	v_add_co_u32 v2, s1, s2, v0
	v_add_co_ci_u32_e64 v3, null, s3, 0, s1
	v_add_co_u32 v0, s1, 0x1000, v2
	v_add_co_ci_u32_e64 v1, s1, 0, v3, s1
	v_add_co_u32 v2, s1, 0x1760, v2
	v_add_co_ci_u32_e64 v3, s1, 0, v3, s1
	s_clause 0x1
	global_load_dwordx4 v[228:231], v[0:1], off offset:1888
	global_load_dwordx4 v[224:227], v[2:3], off offset:16
	ds_read_b128 v[0:3], v167 offset:10560
	ds_read_b128 v[8:11], v167 offset:11440
	s_waitcnt vmcnt(1) lgkmcnt(1)
	v_mul_f64 v[32:33], v[2:3], v[230:231]
	v_fma_f64 v[108:109], v[0:1], v[228:229], -v[32:33]
	v_mul_f64 v[0:1], v[0:1], v[230:231]
	v_fma_f64 v[110:111], v[2:3], v[228:229], v[0:1]
	s_waitcnt vmcnt(0)
	v_mul_f64 v[0:1], v[6:7], v[226:227]
	v_fma_f64 v[112:113], v[4:5], v[224:225], -v[0:1]
	v_mul_f64 v[0:1], v[4:5], v[226:227]
	v_fma_f64 v[114:115], v[6:7], v[224:225], v[0:1]
	v_add_nc_u32_e32 v0, 0x2940, v43
	v_add_co_u32 v2, s1, s2, v0
	v_add_co_ci_u32_e64 v3, null, s3, 0, s1
	s_mov_b32 s2, 0xe8584caa
	v_add_co_u32 v0, s1, 0x1000, v2
	v_add_co_ci_u32_e64 v1, s1, 0, v3, s1
	v_add_co_u32 v2, s1, 0x1760, v2
	v_add_co_ci_u32_e64 v3, s1, 0, v3, s1
	s_clause 0x1
	global_load_dwordx4 v[236:239], v[0:1], off offset:1888
	global_load_dwordx4 v[232:235], v[2:3], off offset:16
	s_mov_b32 s3, 0x3febb67a
	s_mov_b32 s4, s2
	s_waitcnt vmcnt(1) lgkmcnt(0)
	v_mul_f64 v[0:1], v[10:11], v[238:239]
	v_fma_f64 v[116:117], v[8:9], v[236:237], -v[0:1]
	v_mul_f64 v[0:1], v[8:9], v[238:239]
	v_add_f64 v[8:9], v[20:21], v[24:25]
	v_fma_f64 v[118:119], v[10:11], v[236:237], v[0:1]
	ds_read_b128 v[0:3], v167 offset:17600
	v_add_f64 v[10:11], v[22:23], v[26:27]
	s_waitcnt vmcnt(0) lgkmcnt(0)
	v_mul_f64 v[4:5], v[2:3], v[234:235]
	v_fma_f64 v[120:121], v[0:1], v[232:233], -v[4:5]
	v_mul_f64 v[0:1], v[0:1], v[234:235]
	v_fma_f64 v[122:123], v[2:3], v[232:233], v[0:1]
	ds_read_b128 v[0:3], v167
	ds_read_b128 v[4:7], v167 offset:880
	s_waitcnt lgkmcnt(1)
	v_fma_f64 v[8:9], v[8:9], -0.5, v[0:1]
	v_add_f64 v[0:1], v[0:1], v[20:21]
	v_fma_f64 v[10:11], v[10:11], -0.5, v[2:3]
	v_add_f64 v[2:3], v[2:3], v[22:23]
	v_add_f64 v[22:23], v[22:23], -v[26:27]
	v_add_f64 v[32:33], v[0:1], v[24:25]
	v_add_f64 v[0:1], v[20:21], -v[24:25]
	v_add_f64 v[34:35], v[2:3], v[26:27]
	v_add_f64 v[2:3], v[74:75], v[14:15]
	v_fma_f64 v[36:37], v[22:23], s[2:3], v[8:9]
	v_fma_f64 v[40:41], v[22:23], s[4:5], v[8:9]
	v_add_f64 v[8:9], v[74:75], -v[14:15]
	v_fma_f64 v[38:39], v[0:1], s[4:5], v[10:11]
	v_fma_f64 v[42:43], v[0:1], s[2:3], v[10:11]
	v_add_f64 v[0:1], v[72:73], v[12:13]
	s_waitcnt lgkmcnt(0)
	v_fma_f64 v[2:3], v[2:3], -0.5, v[6:7]
	v_add_f64 v[6:7], v[6:7], v[74:75]
	v_add_f64 v[10:11], v[18:19], v[80:81]
	v_fma_f64 v[0:1], v[0:1], -0.5, v[4:5]
	v_add_f64 v[4:5], v[4:5], v[72:73]
	v_add_f64 v[70:71], v[6:7], v[14:15]
	v_fma_f64 v[76:77], v[8:9], s[4:5], v[0:1]
	v_add_f64 v[68:69], v[4:5], v[12:13]
	v_add_f64 v[4:5], v[72:73], -v[12:13]
	v_fma_f64 v[72:73], v[8:9], s[2:3], v[0:1]
	v_add_f64 v[8:9], v[16:17], v[84:85]
	v_add_f64 v[12:13], v[18:19], -v[80:81]
	v_fma_f64 v[74:75], v[4:5], s[4:5], v[2:3]
	v_fma_f64 v[78:79], v[4:5], s[2:3], v[2:3]
	ds_read_b128 v[0:3], v167 offset:1760
	ds_read_b128 v[4:7], v167 offset:2640
	s_waitcnt lgkmcnt(1)
	v_fma_f64 v[8:9], v[8:9], -0.5, v[0:1]
	v_fma_f64 v[10:11], v[10:11], -0.5, v[2:3]
	v_add_f64 v[2:3], v[2:3], v[18:19]
	v_add_f64 v[0:1], v[0:1], v[16:17]
	v_fma_f64 v[88:89], v[12:13], s[4:5], v[8:9]
	v_add_f64 v[82:83], v[2:3], v[80:81]
	v_add_f64 v[80:81], v[0:1], v[84:85]
	v_add_f64 v[0:1], v[16:17], -v[84:85]
	v_add_f64 v[2:3], v[92:93], v[94:95]
	v_fma_f64 v[84:85], v[12:13], s[2:3], v[8:9]
	v_add_f64 v[8:9], v[92:93], -v[94:95]
	v_add_f64 v[12:13], v[102:103], -v[106:107]
	v_fma_f64 v[86:87], v[0:1], s[4:5], v[10:11]
	v_fma_f64 v[90:91], v[0:1], s[2:3], v[10:11]
	v_add_f64 v[0:1], v[96:97], v[98:99]
	s_waitcnt lgkmcnt(0)
	v_fma_f64 v[2:3], v[2:3], -0.5, v[6:7]
	v_add_f64 v[6:7], v[6:7], v[92:93]
	v_add_f64 v[10:11], v[102:103], v[106:107]
	v_fma_f64 v[0:1], v[0:1], -0.5, v[4:5]
	v_add_f64 v[4:5], v[4:5], v[96:97]
	v_add_f64 v[94:95], v[6:7], v[94:95]
	v_fma_f64 v[252:253], v[8:9], s[4:5], v[0:1]
	v_add_f64 v[92:93], v[4:5], v[98:99]
	v_add_f64 v[4:5], v[96:97], -v[98:99]
	v_fma_f64 v[96:97], v[8:9], s[2:3], v[0:1]
	v_add_f64 v[8:9], v[100:101], v[104:105]
	v_fma_f64 v[98:99], v[4:5], s[4:5], v[2:3]
	v_fma_f64 v[254:255], v[4:5], s[2:3], v[2:3]
	ds_read_b128 v[0:3], v167 offset:3520
	ds_read_b128 v[4:7], v167 offset:4400
	ds_write_b128 v167, v[32:35]
	ds_write_b128 v167, v[68:71] offset:880
	ds_write_b128 v167, v[80:83] offset:1760
	;; [unrolled: 1-line block ×10, first 2 shown]
	s_waitcnt lgkmcnt(12)
	v_fma_f64 v[8:9], v[8:9], -0.5, v[0:1]
	v_add_f64 v[0:1], v[0:1], v[100:101]
	v_fma_f64 v[10:11], v[10:11], -0.5, v[2:3]
	v_add_f64 v[2:3], v[2:3], v[102:103]
	v_fma_f64 v[20:21], v[12:13], s[2:3], v[8:9]
	v_add_f64 v[24:25], v[0:1], v[104:105]
	v_add_f64 v[0:1], v[100:101], -v[104:105]
	v_add_f64 v[26:27], v[2:3], v[106:107]
	v_fma_f64 v[16:17], v[12:13], s[4:5], v[8:9]
	v_add_f64 v[2:3], v[110:111], v[114:115]
	v_fma_f64 v[22:23], v[0:1], s[4:5], v[10:11]
	v_fma_f64 v[18:19], v[0:1], s[2:3], v[10:11]
	v_add_f64 v[0:1], v[108:109], v[112:113]
	v_add_f64 v[10:11], v[110:111], -v[114:115]
	s_waitcnt lgkmcnt(11)
	v_fma_f64 v[2:3], v[2:3], -0.5, v[6:7]
	v_add_f64 v[6:7], v[6:7], v[110:111]
	v_fma_f64 v[0:1], v[0:1], -0.5, v[4:5]
	v_add_f64 v[4:5], v[4:5], v[108:109]
	v_add_f64 v[14:15], v[6:7], v[114:115]
	v_add_f64 v[6:7], v[108:109], -v[112:113]
	v_fma_f64 v[8:9], v[10:11], s[2:3], v[0:1]
	v_add_f64 v[12:13], v[4:5], v[112:113]
	v_fma_f64 v[4:5], v[10:11], s[4:5], v[0:1]
	v_add_f64 v[0:1], v[116:117], v[120:121]
	v_fma_f64 v[10:11], v[6:7], s[4:5], v[2:3]
	v_fma_f64 v[6:7], v[6:7], s[2:3], v[2:3]
	v_fma_f64 v[100:101], v[0:1], -0.5, v[28:29]
	v_add_f64 v[0:1], v[118:119], v[122:123]
	v_add_f64 v[28:29], v[28:29], v[116:117]
	v_fma_f64 v[102:103], v[0:1], -0.5, v[30:31]
	v_add_f64 v[0:1], v[30:31], v[118:119]
	v_add_f64 v[30:31], v[118:119], -v[122:123]
	v_add_f64 v[2:3], v[0:1], v[122:123]
	v_add_f64 v[0:1], v[28:29], v[120:121]
	v_add_f64 v[28:29], v[116:117], -v[120:121]
	v_fma_f64 v[248:249], v[30:31], s[2:3], v[100:101]
	v_fma_f64 v[244:245], v[30:31], s[4:5], v[100:101]
	v_add_co_u32 v30, s1, 0x4800, v128
	v_add_co_ci_u32_e64 v31, s1, 0, v129, s1
	v_fma_f64 v[250:251], v[28:29], s[4:5], v[102:103]
	v_fma_f64 v[246:247], v[28:29], s[2:3], v[102:103]
	v_add_co_u32 v28, s1, 0x4830, v128
	v_add_co_ci_u32_e64 v29, s1, 0, v129, s1
	ds_write_b128 v167, v[24:27] offset:3520
	ds_write_b128 v167, v[12:15] offset:4400
	;; [unrolled: 1-line block ×10, first 2 shown]
	s_waitcnt lgkmcnt(0)
	s_waitcnt_vscnt null, 0x0
	s_barrier
	buffer_gl0_inv
	s_clause 0x1
	global_load_dwordx4 v[30:33], v[30:31], off offset:48
	global_load_dwordx4 v[34:37], v[28:29], off offset:1680
	ds_read_b128 v[38:41], v167
	ds_read_b128 v[68:71], v167 offset:1680
	s_waitcnt vmcnt(1) lgkmcnt(1)
	v_mul_f64 v[42:43], v[40:41], v[32:33]
	v_mul_f64 v[32:33], v[38:39], v[32:33]
	v_fma_f64 v[38:39], v[38:39], v[30:31], -v[42:43]
	v_fma_f64 v[40:41], v[40:41], v[30:31], v[32:33]
	s_waitcnt vmcnt(0) lgkmcnt(0)
	v_mul_f64 v[30:31], v[70:71], v[36:37]
	v_mul_f64 v[32:33], v[68:69], v[36:37]
	v_fma_f64 v[30:31], v[68:69], v[34:35], -v[30:31]
	v_fma_f64 v[32:33], v[70:71], v[34:35], v[32:33]
	v_add_co_u32 v34, s1, 0x5000, v128
	v_add_co_ci_u32_e64 v35, s1, 0, v129, s1
	v_add_co_u32 v42, s1, 0x5800, v128
	v_add_co_ci_u32_e64 v43, s1, 0, v129, s1
	s_clause 0x1
	global_load_dwordx4 v[34:37], v[34:35], off offset:1360
	global_load_dwordx4 v[68:71], v[42:43], off offset:992
	ds_read_b128 v[72:75], v167 offset:3360
	ds_read_b128 v[76:79], v167 offset:5040
	s_waitcnt vmcnt(1) lgkmcnt(1)
	v_mul_f64 v[42:43], v[74:75], v[36:37]
	v_mul_f64 v[36:37], v[72:73], v[36:37]
	v_fma_f64 v[72:73], v[72:73], v[34:35], -v[42:43]
	v_fma_f64 v[74:75], v[74:75], v[34:35], v[36:37]
	s_waitcnt vmcnt(0) lgkmcnt(0)
	v_mul_f64 v[34:35], v[78:79], v[70:71]
	v_mul_f64 v[36:37], v[76:77], v[70:71]
	v_add_co_u32 v42, s1, 0x6000, v128
	v_add_co_ci_u32_e64 v43, s1, 0, v129, s1
	v_add_co_u32 v88, s1, 0x6800, v128
	v_add_co_ci_u32_e64 v89, s1, 0, v129, s1
	v_fma_f64 v[34:35], v[76:77], v[68:69], -v[34:35]
	v_fma_f64 v[36:37], v[78:79], v[68:69], v[36:37]
	s_clause 0x1
	global_load_dwordx4 v[68:71], v[42:43], off offset:624
	global_load_dwordx4 v[76:79], v[88:89], off offset:256
	ds_read_b128 v[80:83], v167 offset:6720
	ds_read_b128 v[84:87], v167 offset:8400
	s_waitcnt vmcnt(1) lgkmcnt(1)
	v_mul_f64 v[42:43], v[82:83], v[70:71]
	v_mul_f64 v[70:71], v[80:81], v[70:71]
	v_fma_f64 v[80:81], v[80:81], v[68:69], -v[42:43]
	s_waitcnt vmcnt(0) lgkmcnt(0)
	v_mul_f64 v[42:43], v[86:87], v[78:79]
	v_fma_f64 v[82:83], v[82:83], v[68:69], v[70:71]
	v_mul_f64 v[70:71], v[84:85], v[78:79]
	v_fma_f64 v[68:69], v[84:85], v[76:77], -v[42:43]
	v_add_co_u32 v42, s1, 0x7000, v128
	v_add_co_ci_u32_e64 v43, s1, 0, v129, s1
	v_fma_f64 v[70:71], v[86:87], v[76:77], v[70:71]
	s_clause 0x1
	global_load_dwordx4 v[76:79], v[88:89], off offset:1936
	global_load_dwordx4 v[84:87], v[42:43], off offset:1568
	ds_read_b128 v[88:91], v167 offset:10080
	ds_read_b128 v[92:95], v167 offset:11760
	s_waitcnt vmcnt(1) lgkmcnt(1)
	v_mul_f64 v[42:43], v[90:91], v[78:79]
	v_mul_f64 v[78:79], v[88:89], v[78:79]
	v_fma_f64 v[88:89], v[88:89], v[76:77], -v[42:43]
	s_waitcnt vmcnt(0) lgkmcnt(0)
	v_mul_f64 v[42:43], v[94:95], v[86:87]
	v_fma_f64 v[90:91], v[90:91], v[76:77], v[78:79]
	v_mul_f64 v[78:79], v[92:93], v[86:87]
	v_fma_f64 v[76:77], v[92:93], v[84:85], -v[42:43]
	v_add_co_u32 v42, s1, 0x7800, v128
	v_add_co_ci_u32_e64 v43, s1, 0, v129, s1
	v_add_co_u32 v92, s1, 0x8000, v128
	v_add_co_ci_u32_e64 v93, s1, 0, v129, s1
	v_fma_f64 v[78:79], v[94:95], v[84:85], v[78:79]
	s_clause 0x1
	global_load_dwordx4 v[84:87], v[42:43], off offset:1200
	global_load_dwordx4 v[92:95], v[92:93], off offset:832
	ds_read_b128 v[96:99], v167 offset:13440
	ds_read_b128 v[100:103], v167 offset:15120
	s_waitcnt vmcnt(1) lgkmcnt(1)
	v_mul_f64 v[42:43], v[98:99], v[86:87]
	v_mul_f64 v[86:87], v[96:97], v[86:87]
	v_fma_f64 v[96:97], v[96:97], v[84:85], -v[42:43]
	s_waitcnt vmcnt(0) lgkmcnt(0)
	v_mul_f64 v[42:43], v[102:103], v[94:95]
	v_fma_f64 v[98:99], v[98:99], v[84:85], v[86:87]
	v_mul_f64 v[86:87], v[100:101], v[94:95]
	v_fma_f64 v[84:85], v[100:101], v[92:93], -v[42:43]
	v_add_co_u32 v42, s1, 0x8800, v128
	v_add_co_ci_u32_e64 v43, s1, 0, v129, s1
	v_fma_f64 v[86:87], v[102:103], v[92:93], v[86:87]
	ds_read_b128 v[100:103], v167 offset:16800
	global_load_dwordx4 v[92:95], v[42:43], off offset:464
	s_waitcnt vmcnt(0) lgkmcnt(0)
	v_mul_f64 v[42:43], v[102:103], v[94:95]
	v_mul_f64 v[94:95], v[100:101], v[94:95]
	v_fma_f64 v[100:101], v[100:101], v[92:93], -v[42:43]
	v_fma_f64 v[102:103], v[102:103], v[92:93], v[94:95]
	ds_write_b128 v167, v[38:41]
	ds_write_b128 v167, v[30:33] offset:1680
	ds_write_b128 v167, v[72:75] offset:3360
	;; [unrolled: 1-line block ×10, first 2 shown]
	s_and_saveexec_b32 s2, vcc_lo
	s_cbranch_execz .LBB0_13
; %bb.12:
	v_add_co_u32 v34, s1, 0x800, v28
	v_add_co_ci_u32_e64 v35, s1, 0, v29, s1
	v_add_co_u32 v42, s1, 0x1000, v28
	s_clause 0x1
	global_load_dwordx4 v[30:33], v[28:29], off offset:880
	global_load_dwordx4 v[34:37], v[34:35], off offset:512
	v_add_co_ci_u32_e64 v43, s1, 0, v29, s1
	v_add_co_u32 v72, s1, 0x1800, v28
	v_add_co_ci_u32_e64 v73, s1, 0, v29, s1
	v_add_co_u32 v76, s1, 0x2000, v28
	;; [unrolled: 2-line block ×4, first 2 shown]
	v_add_co_ci_u32_e64 v89, s1, 0, v29, s1
	s_clause 0x5
	global_load_dwordx4 v[38:41], v[42:43], off offset:144
	global_load_dwordx4 v[68:71], v[42:43], off offset:1824
	;; [unrolled: 1-line block ×6, first 2 shown]
	v_add_co_u32 v42, s1, 0x3800, v28
	v_add_co_ci_u32_e64 v43, s1, 0, v29, s1
	v_add_co_u32 v28, s1, 0x4000, v28
	v_add_co_ci_u32_e64 v29, s1, 0, v29, s1
	s_clause 0x2
	global_load_dwordx4 v[88:91], v[88:89], off offset:2032
	global_load_dwordx4 v[92:95], v[42:43], off offset:1664
	;; [unrolled: 1-line block ×3, first 2 shown]
	ds_read_b128 v[100:103], v167 offset:880
	ds_read_b128 v[104:107], v167 offset:2560
	;; [unrolled: 1-line block ×11, first 2 shown]
	s_waitcnt vmcnt(10) lgkmcnt(10)
	v_mul_f64 v[28:29], v[102:103], v[32:33]
	v_mul_f64 v[32:33], v[100:101], v[32:33]
	s_waitcnt vmcnt(9) lgkmcnt(9)
	v_mul_f64 v[42:43], v[106:107], v[36:37]
	v_mul_f64 v[36:37], v[104:105], v[36:37]
	s_waitcnt vmcnt(7) lgkmcnt(7)
	v_mul_f64 v[144:145], v[114:115], v[70:71]
	v_mul_f64 v[70:71], v[112:113], v[70:71]
	s_waitcnt vmcnt(6) lgkmcnt(6)
	v_mul_f64 v[150:151], v[118:119], v[74:75]
	v_mul_f64 v[142:143], v[110:111], v[40:41]
	v_mul_f64 v[40:41], v[108:109], v[40:41]
	v_mul_f64 v[74:75], v[116:117], v[74:75]
	s_waitcnt vmcnt(5) lgkmcnt(5)
	v_mul_f64 v[152:153], v[122:123], v[78:79]
	v_mul_f64 v[78:79], v[120:121], v[78:79]
	s_waitcnt vmcnt(4) lgkmcnt(4)
	;; [unrolled: 3-line block ×3, first 2 shown]
	v_mul_f64 v[156:157], v[132:133], v[86:87]
	v_mul_f64 v[86:87], v[130:131], v[86:87]
	v_fma_f64 v[28:29], v[100:101], v[30:31], -v[28:29]
	s_waitcnt vmcnt(2) lgkmcnt(2)
	v_mul_f64 v[100:101], v[136:137], v[90:91]
	v_mul_f64 v[90:91], v[134:135], v[90:91]
	v_fma_f64 v[30:31], v[102:103], v[30:31], v[32:33]
	s_waitcnt vmcnt(1) lgkmcnt(1)
	v_mul_f64 v[102:103], v[140:141], v[94:95]
	v_mul_f64 v[94:95], v[138:139], v[94:95]
	v_fma_f64 v[32:33], v[104:105], v[34:35], -v[42:43]
	s_waitcnt vmcnt(0) lgkmcnt(0)
	v_mul_f64 v[104:105], v[148:149], v[98:99]
	v_mul_f64 v[98:99], v[146:147], v[98:99]
	v_fma_f64 v[34:35], v[106:107], v[34:35], v[36:37]
	v_fma_f64 v[42:43], v[114:115], v[68:69], v[70:71]
	v_fma_f64 v[36:37], v[108:109], v[38:39], -v[142:143]
	v_fma_f64 v[38:39], v[110:111], v[38:39], v[40:41]
	v_fma_f64 v[40:41], v[112:113], v[68:69], -v[144:145]
	v_fma_f64 v[68:69], v[116:117], v[72:73], -v[150:151]
	v_fma_f64 v[70:71], v[118:119], v[72:73], v[74:75]
	v_fma_f64 v[72:73], v[120:121], v[76:77], -v[152:153]
	v_fma_f64 v[74:75], v[122:123], v[76:77], v[78:79]
	v_fma_f64 v[76:77], v[124:125], v[80:81], -v[154:155]
	v_fma_f64 v[78:79], v[126:127], v[80:81], v[82:83]
	v_fma_f64 v[80:81], v[130:131], v[84:85], -v[156:157]
	v_fma_f64 v[82:83], v[132:133], v[84:85], v[86:87]
	v_fma_f64 v[84:85], v[134:135], v[88:89], -v[100:101]
	v_fma_f64 v[86:87], v[136:137], v[88:89], v[90:91]
	v_fma_f64 v[88:89], v[138:139], v[92:93], -v[102:103]
	v_fma_f64 v[90:91], v[140:141], v[92:93], v[94:95]
	v_fma_f64 v[92:93], v[146:147], v[96:97], -v[104:105]
	v_fma_f64 v[94:95], v[148:149], v[96:97], v[98:99]
	ds_write_b128 v167, v[28:31] offset:880
	ds_write_b128 v167, v[32:35] offset:2560
	;; [unrolled: 1-line block ×11, first 2 shown]
.LBB0_13:
	s_or_b32 exec_lo, exec_lo, s2
	s_waitcnt lgkmcnt(0)
	s_barrier
	buffer_gl0_inv
	ds_read_b128 v[28:31], v167
	ds_read_b128 v[80:83], v167 offset:1680
	ds_read_b128 v[76:79], v167 offset:3360
	;; [unrolled: 1-line block ×10, first 2 shown]
	s_and_saveexec_b32 s1, vcc_lo
	s_cbranch_execz .LBB0_15
; %bb.14:
	ds_read_b128 v[252:255], v167 offset:880
	ds_read_b128 v[24:27], v167 offset:2560
	;; [unrolled: 1-line block ×11, first 2 shown]
.LBB0_15:
	s_or_b32 exec_lo, exec_lo, s1
	s_waitcnt lgkmcnt(9)
	v_add_f64 v[96:97], v[28:29], v[80:81]
	v_add_f64 v[98:99], v[30:31], v[82:83]
	s_waitcnt lgkmcnt(0)
	v_add_f64 v[104:105], v[82:83], v[34:35]
	v_add_f64 v[108:109], v[82:83], -v[34:35]
	s_mov_b32 s14, 0xf8bb580b
	s_mov_b32 s26, 0x8eee2c13
	;; [unrolled: 1-line block ×10, first 2 shown]
	v_add_f64 v[102:103], v[80:81], v[32:33]
	v_add_f64 v[106:107], v[80:81], -v[32:33]
	v_add_f64 v[80:81], v[76:77], v[36:37]
	v_add_f64 v[130:131], v[78:79], v[38:39]
	v_add_f64 v[100:101], v[78:79], -v[38:39]
	s_mov_b32 s4, 0x8764f0ba
	s_mov_b32 s2, 0xd9c712b6
	;; [unrolled: 1-line block ×3, first 2 shown]
	v_add_f64 v[96:97], v[96:97], v[76:77]
	v_add_f64 v[98:99], v[98:99], v[78:79]
	;; [unrolled: 1-line block ×3, first 2 shown]
	s_mov_b32 s12, 0x7f775887
	s_mov_b32 s16, 0x9bcd5057
	;; [unrolled: 1-line block ×7, first 2 shown]
	v_mul_f64 v[112:113], v[104:105], s[4:5]
	v_mul_f64 v[114:115], v[104:105], s[18:19]
	v_mul_f64 v[116:117], v[104:105], s[12:13]
	s_mov_b32 s29, 0x3fe14ced
	s_mov_b32 s31, 0x3fed1bb4
	;; [unrolled: 1-line block ×9, first 2 shown]
	v_add_f64 v[96:97], v[96:97], v[68:69]
	v_add_f64 v[98:99], v[98:99], v[70:71]
	v_mul_f64 v[138:139], v[78:79], s[18:19]
	s_barrier
	buffer_gl0_inv
	v_fma_f64 v[124:125], v[106:107], s[28:29], v[112:113]
	v_fma_f64 v[132:133], v[106:107], s[38:39], v[116:117]
	;; [unrolled: 1-line block ×3, first 2 shown]
	v_add_f64 v[96:97], v[96:97], v[88:89]
	v_add_f64 v[98:99], v[98:99], v[90:91]
	;; [unrolled: 1-line block ×11, first 2 shown]
	v_add_f64 v[82:83], v[76:77], -v[36:37]
	v_add_f64 v[76:77], v[68:69], v[72:73]
	v_add_f64 v[72:73], v[68:69], -v[72:73]
	v_add_f64 v[96:97], v[70:71], -v[74:75]
	v_add_f64 v[68:69], v[88:89], v[92:93]
	v_add_f64 v[74:75], v[90:91], v[94:95]
	v_add_f64 v[70:71], v[88:89], -v[92:93]
	v_add_f64 v[88:89], v[90:91], -v[94:95]
	v_add_f64 v[90:91], v[42:43], v[86:87]
	v_add_f64 v[42:43], v[42:43], -v[86:87]
	v_mul_f64 v[86:87], v[108:109], s[14:15]
	v_add_f64 v[94:95], v[40:41], v[84:85]
	v_mul_f64 v[92:93], v[108:109], s[26:27]
	v_add_f64 v[40:41], v[40:41], -v[84:85]
	v_mul_f64 v[84:85], v[108:109], s[24:25]
	v_add_f64 v[36:37], v[98:99], v[36:37]
	v_mul_f64 v[98:99], v[108:109], s[20:21]
	v_mul_f64 v[108:109], v[108:109], s[22:23]
	v_add_f64 v[38:39], v[110:111], v[38:39]
	v_mul_f64 v[110:111], v[104:105], s[2:3]
	v_mul_f64 v[104:105], v[104:105], s[16:17]
	;; [unrolled: 1-line block ×6, first 2 shown]
	v_fma_f64 v[118:119], v[102:103], s[4:5], v[86:87]
	v_fma_f64 v[86:87], v[102:103], s[4:5], -v[86:87]
	v_fma_f64 v[120:121], v[102:103], s[2:3], v[92:93]
	v_fma_f64 v[92:93], v[102:103], s[2:3], -v[92:93]
	;; [unrolled: 2-line block ×3, first 2 shown]
	v_add_f64 v[32:33], v[36:37], v[32:33]
	v_fma_f64 v[36:37], v[102:103], s[12:13], v[98:99]
	v_fma_f64 v[98:99], v[102:103], s[12:13], -v[98:99]
	v_fma_f64 v[126:127], v[102:103], s[16:17], v[108:109]
	v_fma_f64 v[102:103], v[102:103], s[16:17], -v[108:109]
	v_add_f64 v[34:35], v[38:39], v[34:35]
	v_fma_f64 v[38:39], v[106:107], s[14:15], v[112:113]
	v_fma_f64 v[112:113], v[106:107], s[30:31], v[110:111]
	;; [unrolled: 1-line block ×7, first 2 shown]
	v_add_f64 v[106:107], v[28:29], v[118:119]
	v_add_f64 v[86:87], v[28:29], v[86:87]
	;; [unrolled: 1-line block ×12, first 2 shown]
	v_mul_f64 v[102:103], v[100:101], s[26:27]
	v_add_f64 v[38:39], v[30:31], v[38:39]
	v_add_f64 v[112:113], v[30:31], v[112:113]
	;; [unrolled: 1-line block ×7, first 2 shown]
	v_fma_f64 v[104:105], v[80:81], s[2:3], v[102:103]
	v_fma_f64 v[102:103], v[80:81], s[2:3], -v[102:103]
	v_add_f64 v[104:105], v[104:105], v[106:107]
	v_mul_f64 v[106:107], v[130:131], s[2:3]
	v_add_f64 v[86:87], v[102:103], v[86:87]
	v_fma_f64 v[132:133], v[82:83], s[30:31], v[106:107]
	v_fma_f64 v[102:103], v[82:83], s[26:27], v[106:107]
	v_mul_f64 v[106:107], v[96:97], s[36:37]
	v_add_f64 v[118:119], v[132:133], v[118:119]
	v_fma_f64 v[132:133], v[76:77], s[18:19], v[136:137]
	v_add_f64 v[38:39], v[102:103], v[38:39]
	v_fma_f64 v[102:103], v[76:77], s[18:19], -v[136:137]
	v_add_f64 v[104:105], v[132:133], v[104:105]
	v_fma_f64 v[132:133], v[72:73], s[34:35], v[138:139]
	v_add_f64 v[86:87], v[102:103], v[86:87]
	v_fma_f64 v[102:103], v[72:73], s[24:25], v[138:139]
	v_add_f64 v[118:119], v[132:133], v[118:119]
	v_fma_f64 v[132:133], v[68:69], s[12:13], v[142:143]
	v_add_f64 v[38:39], v[102:103], v[38:39]
	v_fma_f64 v[102:103], v[68:69], s[12:13], -v[142:143]
	v_mul_f64 v[142:143], v[42:43], s[28:29]
	v_add_f64 v[104:105], v[132:133], v[104:105]
	v_fma_f64 v[132:133], v[70:71], s[38:39], v[144:145]
	v_add_f64 v[86:87], v[102:103], v[86:87]
	v_fma_f64 v[102:103], v[70:71], s[20:21], v[144:145]
	;; [unrolled: 2-line block ×3, first 2 shown]
	v_add_f64 v[38:39], v[102:103], v[38:39]
	v_fma_f64 v[102:103], v[94:95], s[16:17], -v[146:147]
	v_add_f64 v[132:133], v[132:133], v[104:105]
	v_mul_f64 v[104:105], v[90:91], s[16:17]
	v_add_f64 v[146:147], v[102:103], v[86:87]
	v_mul_f64 v[102:103], v[130:131], s[12:13]
	v_fma_f64 v[134:135], v[40:41], s[36:37], v[104:105]
	v_fma_f64 v[104:105], v[40:41], s[22:23], v[104:105]
	v_add_f64 v[134:135], v[134:135], v[118:119]
	v_add_f64 v[148:149], v[104:105], v[38:39]
	v_mul_f64 v[38:39], v[100:101], s[20:21]
	v_fma_f64 v[104:105], v[82:83], s[38:39], v[102:103]
	v_fma_f64 v[86:87], v[80:81], s[12:13], v[38:39]
	v_add_f64 v[104:105], v[104:105], v[112:113]
	v_fma_f64 v[112:113], v[76:77], s[16:17], v[106:107]
	v_fma_f64 v[38:39], v[80:81], s[12:13], -v[38:39]
	v_add_f64 v[86:87], v[86:87], v[120:121]
	v_add_f64 v[38:39], v[38:39], v[92:93]
	v_fma_f64 v[92:93], v[82:83], s[20:21], v[102:103]
	v_fma_f64 v[102:103], v[76:77], s[16:17], -v[106:107]
	v_add_f64 v[86:87], v[112:113], v[86:87]
	v_mul_f64 v[112:113], v[78:79], s[16:17]
	v_add_f64 v[92:93], v[92:93], v[110:111]
	v_add_f64 v[38:39], v[102:103], v[38:39]
	v_fma_f64 v[118:119], v[72:73], s[22:23], v[112:113]
	v_fma_f64 v[102:103], v[72:73], s[36:37], v[112:113]
	v_add_f64 v[104:105], v[118:119], v[104:105]
	v_mul_f64 v[118:119], v[88:89], s[34:35]
	v_add_f64 v[92:93], v[102:103], v[92:93]
	v_fma_f64 v[120:121], v[68:69], s[18:19], v[118:119]
	v_fma_f64 v[102:103], v[68:69], s[18:19], -v[118:119]
	v_add_f64 v[86:87], v[120:121], v[86:87]
	v_mul_f64 v[120:121], v[74:75], s[18:19]
	v_add_f64 v[38:39], v[102:103], v[38:39]
	v_fma_f64 v[136:137], v[70:71], s[24:25], v[120:121]
	v_fma_f64 v[102:103], v[70:71], s[34:35], v[120:121]
	v_add_f64 v[120:121], v[26:27], v[242:243]
	v_add_f64 v[104:105], v[136:137], v[104:105]
	v_fma_f64 v[136:137], v[94:95], s[4:5], v[142:143]
	v_add_f64 v[92:93], v[102:103], v[92:93]
	v_fma_f64 v[102:103], v[94:95], s[4:5], -v[142:143]
	v_add_f64 v[136:137], v[136:137], v[86:87]
	v_mul_f64 v[86:87], v[90:91], s[4:5]
	v_add_f64 v[150:151], v[102:103], v[38:39]
	v_mul_f64 v[38:39], v[100:101], s[36:37]
	v_fma_f64 v[138:139], v[40:41], s[14:15], v[86:87]
	v_fma_f64 v[86:87], v[40:41], s[28:29], v[86:87]
	v_add_f64 v[138:139], v[138:139], v[104:105]
	v_add_f64 v[152:153], v[86:87], v[92:93]
	v_fma_f64 v[86:87], v[80:81], s[16:17], v[38:39]
	v_mul_f64 v[104:105], v[96:97], s[30:31]
	v_mul_f64 v[92:93], v[130:131], s[16:17]
	v_fma_f64 v[38:39], v[80:81], s[16:17], -v[38:39]
	v_add_f64 v[86:87], v[86:87], v[122:123]
	v_fma_f64 v[106:107], v[76:77], s[2:3], v[104:105]
	v_fma_f64 v[102:103], v[82:83], s[22:23], v[92:93]
	v_add_f64 v[38:39], v[38:39], v[84:85]
	v_fma_f64 v[84:85], v[82:83], s[36:37], v[92:93]
	v_fma_f64 v[92:93], v[76:77], s[2:3], -v[104:105]
	v_add_f64 v[86:87], v[106:107], v[86:87]
	v_mul_f64 v[106:107], v[78:79], s[2:3]
	v_add_f64 v[102:103], v[102:103], v[108:109]
	v_add_f64 v[84:85], v[84:85], v[114:115]
	;; [unrolled: 1-line block ×3, first 2 shown]
	v_fma_f64 v[108:109], v[72:73], s[26:27], v[106:107]
	v_fma_f64 v[92:93], v[72:73], s[30:31], v[106:107]
	v_add_f64 v[102:103], v[108:109], v[102:103]
	v_mul_f64 v[108:109], v[88:89], s[14:15]
	v_add_f64 v[84:85], v[92:93], v[84:85]
	v_fma_f64 v[110:111], v[68:69], s[4:5], v[108:109]
	v_fma_f64 v[92:93], v[68:69], s[4:5], -v[108:109]
	v_add_f64 v[86:87], v[110:111], v[86:87]
	v_mul_f64 v[110:111], v[74:75], s[4:5]
	v_add_f64 v[38:39], v[92:93], v[38:39]
	v_fma_f64 v[112:113], v[70:71], s[28:29], v[110:111]
	v_fma_f64 v[92:93], v[70:71], s[14:15], v[110:111]
	v_add_f64 v[102:103], v[112:113], v[102:103]
	v_mul_f64 v[112:113], v[42:43], s[20:21]
	v_add_f64 v[84:85], v[92:93], v[84:85]
	v_fma_f64 v[118:119], v[94:95], s[12:13], v[112:113]
	v_fma_f64 v[92:93], v[94:95], s[12:13], -v[112:113]
	v_add_f64 v[154:155], v[118:119], v[86:87]
	v_mul_f64 v[86:87], v[90:91], s[12:13]
	v_add_f64 v[158:159], v[92:93], v[38:39]
	v_mul_f64 v[38:39], v[100:101], s[34:35]
	v_mul_f64 v[92:93], v[96:97], s[14:15]
	;; [unrolled: 1-line block ×3, first 2 shown]
	v_fma_f64 v[118:119], v[40:41], s[38:39], v[86:87]
	v_fma_f64 v[86:87], v[40:41], s[20:21], v[86:87]
	;; [unrolled: 1-line block ×3, first 2 shown]
	v_add_f64 v[156:157], v[118:119], v[102:103]
	v_add_f64 v[160:161], v[86:87], v[84:85]
	v_fma_f64 v[84:85], v[80:81], s[18:19], v[38:39]
	v_fma_f64 v[102:103], v[76:77], s[4:5], v[92:93]
	v_fma_f64 v[38:39], v[80:81], s[18:19], -v[38:39]
	v_add_f64 v[36:37], v[84:85], v[36:37]
	v_mul_f64 v[84:85], v[130:131], s[18:19]
	v_add_f64 v[38:39], v[38:39], v[98:99]
	v_add_f64 v[36:37], v[102:103], v[36:37]
	v_fma_f64 v[86:87], v[82:83], s[24:25], v[84:85]
	v_mul_f64 v[102:103], v[78:79], s[4:5]
	v_mul_f64 v[78:79], v[78:79], s[12:13]
	v_fma_f64 v[84:85], v[82:83], s[34:35], v[84:85]
	v_add_f64 v[86:87], v[86:87], v[124:125]
	v_fma_f64 v[104:105], v[72:73], s[28:29], v[102:103]
	v_add_f64 v[84:85], v[84:85], v[116:117]
	v_add_f64 v[116:117], v[24:25], v[240:241]
	;; [unrolled: 1-line block ×3, first 2 shown]
	v_mul_f64 v[104:105], v[88:89], s[22:23]
	v_fma_f64 v[106:107], v[68:69], s[16:17], v[104:105]
	v_add_f64 v[36:37], v[106:107], v[36:37]
	v_mul_f64 v[106:107], v[74:75], s[16:17]
	v_mul_f64 v[74:75], v[74:75], s[2:3]
	v_fma_f64 v[108:109], v[70:71], s[36:37], v[106:107]
	v_add_f64 v[86:87], v[108:109], v[86:87]
	v_mul_f64 v[108:109], v[42:43], s[30:31]
	;; [unrolled: 4-line block ×3, first 2 shown]
	v_mul_f64 v[90:91], v[90:91], s[18:19]
	v_fma_f64 v[110:111], v[40:41], s[26:27], v[36:37]
	v_fma_f64 v[36:37], v[40:41], s[30:31], v[36:37]
	v_add_f64 v[164:165], v[110:111], v[86:87]
	v_mul_f64 v[86:87], v[100:101], s[28:29]
	v_mul_f64 v[110:111], v[130:131], s[4:5]
	v_fma_f64 v[100:101], v[80:81], s[4:5], v[86:87]
	v_fma_f64 v[112:113], v[82:83], s[14:15], v[110:111]
	v_fma_f64 v[80:81], v[80:81], s[4:5], -v[86:87]
	v_fma_f64 v[82:83], v[82:83], s[28:29], v[110:111]
	v_mul_f64 v[86:87], v[88:89], s[30:31]
	v_add_f64 v[110:111], v[20:21], -v[244:245]
	v_add_f64 v[100:101], v[100:101], v[126:127]
	v_add_f64 v[112:113], v[112:113], v[140:141]
	;; [unrolled: 1-line block ×4, first 2 shown]
	v_fma_f64 v[80:81], v[76:77], s[4:5], -v[92:93]
	v_fma_f64 v[76:77], v[76:77], s[12:13], -v[96:97]
	v_fma_f64 v[88:89], v[68:69], s[2:3], v[86:87]
	v_fma_f64 v[82:83], v[70:71], s[26:27], v[74:75]
	v_add_f64 v[96:97], v[26:27], -v[242:243]
	v_fma_f64 v[74:75], v[70:71], s[30:31], v[74:75]
	v_fma_f64 v[70:71], v[70:71], s[22:23], v[106:107]
	v_add_f64 v[126:127], v[24:25], -v[240:241]
	v_add_f64 v[92:93], v[22:23], v[246:247]
	v_add_f64 v[100:101], v[114:115], v[100:101]
	v_fma_f64 v[114:115], v[72:73], s[38:39], v[78:79]
	v_fma_f64 v[78:79], v[72:73], s[20:21], v[78:79]
	;; [unrolled: 1-line block ×3, first 2 shown]
	v_add_f64 v[38:39], v[80:81], v[38:39]
	v_add_f64 v[28:29], v[76:77], v[28:29]
	v_fma_f64 v[76:77], v[94:95], s[18:19], v[42:43]
	v_fma_f64 v[42:43], v[94:95], s[18:19], -v[42:43]
	v_mul_f64 v[124:125], v[96:97], s[14:15]
	v_fma_f64 v[80:81], v[40:41], s[34:35], v[90:91]
	v_add_f64 v[102:103], v[16:17], -v[248:249]
	v_mul_f64 v[98:99], v[92:93], s[2:3]
	v_add_f64 v[88:89], v[88:89], v[100:101]
	v_add_f64 v[112:113], v[114:115], v[112:113]
	;; [unrolled: 1-line block ×3, first 2 shown]
	v_fma_f64 v[78:79], v[68:69], s[2:3], -v[86:87]
	v_add_f64 v[72:73], v[72:73], v[84:85]
	v_fma_f64 v[68:69], v[68:69], s[16:17], -v[104:105]
	v_add_f64 v[84:85], v[22:23], -v[246:247]
	v_add_f64 v[86:87], v[16:17], v[248:249]
	v_add_f64 v[140:141], v[76:77], v[88:89]
	;; [unrolled: 1-line block ×3, first 2 shown]
	v_mul_f64 v[112:113], v[120:121], s[4:5]
	v_add_f64 v[28:29], v[78:79], v[28:29]
	v_add_f64 v[30:31], v[74:75], v[30:31]
	v_fma_f64 v[74:75], v[40:41], s[24:25], v[90:91]
	v_add_f64 v[38:39], v[68:69], v[38:39]
	v_add_f64 v[68:69], v[70:71], v[72:73]
	v_fma_f64 v[70:71], v[116:117], s[4:5], -v[124:125]
	v_add_f64 v[90:91], v[20:21], v[244:245]
	v_mul_f64 v[106:107], v[84:85], s[26:27]
	v_add_f64 v[88:89], v[18:19], -v[250:251]
	v_fma_f64 v[72:73], v[94:95], s[2:3], -v[108:109]
	v_add_f64 v[94:95], v[18:19], v[250:251]
	v_add_f64 v[76:77], v[14:15], -v[2:3]
	v_add_f64 v[78:79], v[8:9], -v[4:5]
	v_add_f64 v[142:143], v[80:81], v[82:83]
	v_add_f64 v[82:83], v[12:13], -v[0:1]
	v_add_f64 v[168:169], v[42:43], v[28:29]
	v_fma_f64 v[28:29], v[126:127], s[14:15], v[112:113]
	v_add_f64 v[170:171], v[74:75], v[30:31]
	v_add_f64 v[42:43], v[12:13], v[0:1]
	;; [unrolled: 1-line block ×4, first 2 shown]
	v_fma_f64 v[36:37], v[110:111], s[26:27], v[98:99]
	v_fma_f64 v[40:41], v[90:91], s[2:3], -v[106:107]
	v_mul_f64 v[100:101], v[88:89], s[24:25]
	v_add_f64 v[172:173], v[72:73], v[38:39]
	v_mul_f64 v[108:109], v[94:95], s[18:19]
	v_mul_f64 v[72:73], v[76:77], s[20:21]
	v_add_f64 v[70:71], v[14:15], v[2:3]
	v_add_f64 v[74:75], v[10:11], -v[6:7]
	v_add_f64 v[38:39], v[10:11], v[6:7]
	v_mul_f64 v[114:115], v[88:89], s[36:37]
	v_mul_f64 v[118:119], v[76:77], s[34:35]
	v_add_f64 v[28:29], v[254:255], v[28:29]
	v_add_f64 v[30:31], v[40:41], v[30:31]
	v_mul_f64 v[80:81], v[70:71], s[12:13]
	v_mul_f64 v[40:41], v[74:75], s[22:23]
	;; [unrolled: 1-line block ×5, first 2 shown]
	v_add_f64 v[28:29], v[36:37], v[28:29]
	v_fma_f64 v[36:37], v[86:87], s[18:19], -v[100:101]
	v_add_f64 v[30:31], v[36:37], v[30:31]
	v_fma_f64 v[36:37], v[102:103], s[24:25], v[108:109]
	v_add_f64 v[28:29], v[36:37], v[28:29]
	v_fma_f64 v[36:37], v[42:43], s[12:13], -v[72:73]
	v_add_f64 v[30:31], v[36:37], v[30:31]
	v_fma_f64 v[36:37], v[82:83], s[20:21], v[80:81]
	v_add_f64 v[104:105], v[36:37], v[28:29]
	v_add_f64 v[36:37], v[8:9], v[4:5]
	v_fma_f64 v[28:29], v[36:37], s[16:17], -v[40:41]
	v_add_f64 v[28:29], v[28:29], v[30:31]
	v_fma_f64 v[30:31], v[78:79], s[22:23], v[68:69]
	v_add_f64 v[30:31], v[30:31], v[104:105]
	buffer_load_dword v104, off, s[40:43], 0 offset:300 ; 4-byte Folded Reload
	s_waitcnt vmcnt(0)
	ds_write_b128 v104, v[32:35]
	ds_write_b128 v104, v[132:135] offset:16
	ds_write_b128 v104, v[136:139] offset:32
	ds_write_b128 v104, v[154:157] offset:48
	ds_write_b128 v104, v[162:165] offset:64
	ds_write_b128 v104, v[140:143] offset:80
	ds_write_b128 v104, v[168:171] offset:96
	ds_write_b128 v104, v[172:175] offset:112
	v_mul_f64 v[138:139], v[96:97], s[26:27]
	v_mul_f64 v[134:135], v[84:85], s[20:21]
	;; [unrolled: 1-line block ×3, first 2 shown]
	ds_write_b128 v104, v[158:161] offset:128
	ds_write_b128 v104, v[150:153] offset:144
	;; [unrolled: 1-line block ×3, first 2 shown]
	v_mul_f64 v[136:137], v[92:93], s[12:13]
	v_mul_f64 v[132:133], v[94:95], s[16:17]
	v_fma_f64 v[32:33], v[116:117], s[2:3], -v[138:139]
	v_fma_f64 v[34:35], v[90:91], s[12:13], -v[134:135]
	v_fma_f64 v[104:105], v[126:127], s[26:27], v[140:141]
	v_add_f64 v[32:33], v[252:253], v[32:33]
	v_add_f64 v[32:33], v[34:35], v[32:33]
	;; [unrolled: 1-line block ×3, first 2 shown]
	v_fma_f64 v[104:105], v[110:111], s[20:21], v[136:137]
	v_add_f64 v[34:35], v[104:105], v[34:35]
	v_fma_f64 v[104:105], v[86:87], s[16:17], -v[114:115]
	v_add_f64 v[32:33], v[104:105], v[32:33]
	v_fma_f64 v[104:105], v[102:103], s[36:37], v[132:133]
	v_add_f64 v[34:35], v[104:105], v[34:35]
	v_fma_f64 v[104:105], v[42:43], s[18:19], -v[118:119]
	v_add_f64 v[32:33], v[104:105], v[32:33]
	;; [unrolled: 4-line block ×3, first 2 shown]
	v_mul_f64 v[104:105], v[38:39], s[4:5]
	v_fma_f64 v[142:143], v[78:79], s[28:29], v[104:105]
	v_add_f64 v[34:35], v[142:143], v[34:35]
	s_and_saveexec_b32 s1, vcc_lo
	s_cbranch_execz .LBB0_17
; %bb.16:
	v_add_f64 v[26:27], v[254:255], v[26:27]
	v_add_f64 v[24:25], v[252:253], v[24:25]
	v_mul_f64 v[144:145], v[84:85], s[34:35]
	v_mul_f64 v[152:153], v[102:103], s[14:15]
	v_add_f64 v[22:23], v[26:27], v[22:23]
	v_add_f64 v[20:21], v[24:25], v[20:21]
	v_mul_f64 v[24:25], v[126:127], s[24:25]
	v_fma_f64 v[148:149], v[90:91], s[18:19], -v[144:145]
	v_fma_f64 v[144:145], v[90:91], s[18:19], v[144:145]
	v_fma_f64 v[156:157], v[94:95], s[4:5], v[152:153]
	v_fma_f64 v[152:153], v[94:95], s[4:5], -v[152:153]
	v_add_f64 v[18:19], v[22:23], v[18:19]
	v_add_f64 v[16:17], v[20:21], v[16:17]
	v_mul_f64 v[20:21], v[126:127], s[22:23]
	v_mul_f64 v[22:23], v[126:127], s[20:21]
	v_add_f64 v[14:15], v[18:19], v[14:15]
	v_add_f64 v[12:13], v[16:17], v[12:13]
	v_mul_f64 v[18:19], v[116:117], s[2:3]
	v_fma_f64 v[26:27], v[120:121], s[16:17], v[20:21]
	v_fma_f64 v[20:21], v[120:121], s[16:17], -v[20:21]
	v_mul_f64 v[16:17], v[126:127], s[26:27]
	v_add_f64 v[10:11], v[14:15], v[10:11]
	v_add_f64 v[8:9], v[12:13], v[8:9]
	v_mul_f64 v[12:13], v[126:127], s[14:15]
	v_mul_f64 v[14:15], v[116:117], s[4:5]
	v_add_f64 v[18:19], v[18:19], v[138:139]
	v_add_f64 v[16:17], v[140:141], -v[16:17]
	v_add_f64 v[26:27], v[254:255], v[26:27]
	v_add_f64 v[20:21], v[254:255], v[20:21]
	v_add_f64 v[6:7], v[10:11], v[6:7]
	v_add_f64 v[4:5], v[8:9], v[4:5]
	v_add_f64 v[12:13], v[112:113], -v[12:13]
	v_fma_f64 v[8:9], v[120:121], s[12:13], v[22:23]
	v_fma_f64 v[10:11], v[120:121], s[12:13], -v[22:23]
	v_fma_f64 v[22:23], v[120:121], s[18:19], -v[24:25]
	v_fma_f64 v[24:25], v[120:121], s[18:19], v[24:25]
	v_mul_f64 v[112:113], v[96:97], s[22:23]
	v_mul_f64 v[120:121], v[96:97], s[20:21]
	;; [unrolled: 1-line block ×3, first 2 shown]
	v_add_f64 v[14:15], v[14:15], v[124:125]
	v_add_f64 v[16:17], v[254:255], v[16:17]
	;; [unrolled: 1-line block ×4, first 2 shown]
	v_mul_f64 v[6:7], v[90:91], s[12:13]
	v_add_f64 v[0:1], v[4:5], v[0:1]
	v_mul_f64 v[4:5], v[110:111], s[20:21]
	v_add_f64 v[12:13], v[254:255], v[12:13]
	v_add_f64 v[22:23], v[254:255], v[22:23]
	;; [unrolled: 1-line block ×3, first 2 shown]
	v_fma_f64 v[124:125], v[116:117], s[16:17], -v[112:113]
	v_fma_f64 v[126:127], v[116:117], s[12:13], -v[120:121]
	v_fma_f64 v[138:139], v[116:117], s[18:19], v[96:97]
	v_fma_f64 v[112:113], v[116:117], s[16:17], v[112:113]
	;; [unrolled: 1-line block ×3, first 2 shown]
	v_fma_f64 v[96:97], v[116:117], s[18:19], -v[96:97]
	v_add_f64 v[14:15], v[252:253], v[14:15]
	v_add_f64 v[8:9], v[254:255], v[8:9]
	;; [unrolled: 1-line block ×5, first 2 shown]
	v_mul_f64 v[134:135], v[110:111], s[26:27]
	v_add_f64 v[4:5], v[136:137], -v[4:5]
	v_mul_f64 v[136:137], v[110:111], s[34:35]
	v_add_f64 v[0:1], v[0:1], v[248:249]
	v_add_f64 v[116:117], v[252:253], v[124:125]
	v_add_f64 v[124:125], v[252:253], v[126:127]
	v_add_f64 v[126:127], v[252:253], v[138:139]
	v_add_f64 v[112:113], v[252:253], v[112:113]
	v_add_f64 v[120:121], v[252:253], v[120:121]
	v_add_f64 v[96:97], v[252:253], v[96:97]
	v_add_f64 v[6:7], v[6:7], v[18:19]
	v_add_f64 v[98:99], v[98:99], -v[134:135]
	v_mul_f64 v[134:135], v[90:91], s[2:3]
	v_fma_f64 v[140:141], v[92:93], s[18:19], v[136:137]
	v_fma_f64 v[136:137], v[92:93], s[18:19], -v[136:137]
	v_add_f64 v[4:5], v[4:5], v[16:17]
	v_add_f64 v[18:19], v[144:145], v[120:121]
	;; [unrolled: 1-line block ×4, first 2 shown]
	v_mul_f64 v[134:135], v[110:111], s[28:29]
	v_mul_f64 v[110:111], v[110:111], s[36:37]
	;; [unrolled: 1-line block ×3, first 2 shown]
	v_add_f64 v[8:9], v[140:141], v[8:9]
	v_add_f64 v[10:11], v[136:137], v[10:11]
	;; [unrolled: 1-line block ×3, first 2 shown]
	v_fma_f64 v[138:139], v[92:93], s[4:5], v[134:135]
	v_fma_f64 v[134:135], v[92:93], s[4:5], -v[134:135]
	v_fma_f64 v[142:143], v[92:93], s[16:17], -v[110:111]
	v_fma_f64 v[92:93], v[92:93], s[16:17], v[110:111]
	v_mul_f64 v[110:111], v[84:85], s[28:29]
	v_mul_f64 v[84:85], v[84:85], s[36:37]
	;; [unrolled: 1-line block ×3, first 2 shown]
	v_fma_f64 v[120:121], v[70:71], s[16:17], v[98:99]
	v_fma_f64 v[98:99], v[70:71], s[16:17], -v[98:99]
	v_add_f64 v[8:9], v[156:157], v[8:9]
	v_add_f64 v[10:11], v[152:153], v[10:11]
	;; [unrolled: 1-line block ×3, first 2 shown]
	v_mul_f64 v[138:139], v[88:89], s[14:15]
	v_add_f64 v[20:21], v[134:135], v[20:21]
	v_add_f64 v[24:25], v[92:93], v[24:25]
	v_fma_f64 v[146:147], v[90:91], s[4:5], -v[110:111]
	v_fma_f64 v[110:111], v[90:91], s[4:5], v[110:111]
	v_fma_f64 v[150:151], v[90:91], s[16:17], v[84:85]
	v_fma_f64 v[84:85], v[90:91], s[16:17], -v[84:85]
	v_mul_f64 v[90:91], v[102:103], s[36:37]
	v_mul_f64 v[92:93], v[82:83], s[30:31]
	v_add_f64 v[22:23], v[142:143], v[22:23]
	v_add_f64 v[120:121], v[120:121], v[8:9]
	v_mul_f64 v[8:9], v[78:79], s[24:25]
	v_add_f64 v[10:11], v[98:99], v[10:11]
	v_fma_f64 v[162:163], v[86:87], s[4:5], -v[138:139]
	v_fma_f64 v[138:139], v[86:87], s[4:5], v[138:139]
	v_add_f64 v[110:111], v[110:111], v[112:113]
	v_add_f64 v[112:113], v[148:149], v[124:125]
	;; [unrolled: 1-line block ×3, first 2 shown]
	v_add_f64 v[90:91], v[132:133], -v[90:91]
	v_mul_f64 v[132:133], v[86:87], s[16:17]
	v_mul_f64 v[96:97], v[76:77], s[30:31]
	;; [unrolled: 1-line block ×3, first 2 shown]
	v_fma_f64 v[124:125], v[42:43], s[16:17], -v[106:107]
	v_fma_f64 v[106:107], v[42:43], s[16:17], v[106:107]
	v_add_f64 v[16:17], v[150:151], v[126:127]
	v_add_f64 v[18:19], v[138:139], v[18:19]
	;; [unrolled: 1-line block ×5, first 2 shown]
	v_mul_f64 v[132:133], v[102:103], s[24:25]
	v_mul_f64 v[90:91], v[78:79], s[30:31]
	v_add_f64 v[106:107], v[106:107], v[18:19]
	v_add_f64 v[112:113], v[124:125], v[112:113]
	v_mul_f64 v[124:125], v[74:75], s[24:25]
	v_add_f64 v[6:7], v[114:115], v[6:7]
	v_add_f64 v[108:109], v[108:109], -v[132:133]
	v_mul_f64 v[132:133], v[86:87], s[18:19]
	v_fma_f64 v[114:115], v[38:39], s[18:19], v[8:9]
	v_fma_f64 v[8:9], v[38:39], s[18:19], -v[8:9]
	v_fma_f64 v[126:127], v[36:37], s[18:19], -v[124:125]
	v_fma_f64 v[124:125], v[36:37], s[18:19], v[124:125]
	v_add_f64 v[12:13], v[108:109], v[12:13]
	v_add_f64 v[100:101], v[132:133], v[100:101]
	v_mul_f64 v[132:133], v[102:103], s[20:21]
	v_mul_f64 v[102:103], v[102:103], s[30:31]
	;; [unrolled: 1-line block ×3, first 2 shown]
	v_add_f64 v[14:15], v[100:101], v[14:15]
	v_fma_f64 v[154:155], v[94:95], s[12:13], v[132:133]
	v_fma_f64 v[132:133], v[94:95], s[12:13], -v[132:133]
	v_fma_f64 v[158:159], v[94:95], s[2:3], -v[102:103]
	v_fma_f64 v[94:95], v[94:95], s[2:3], v[102:103]
	v_mul_f64 v[102:103], v[88:89], s[20:21]
	v_mul_f64 v[88:89], v[88:89], s[30:31]
	v_add_f64 v[26:27], v[154:155], v[26:27]
	v_add_f64 v[20:21], v[132:133], v[20:21]
	;; [unrolled: 1-line block ×3, first 2 shown]
	v_fma_f64 v[132:133], v[38:39], s[2:3], v[90:91]
	v_fma_f64 v[160:161], v[86:87], s[12:13], -v[102:103]
	v_fma_f64 v[102:103], v[86:87], s[12:13], v[102:103]
	v_fma_f64 v[164:165], v[86:87], s[2:3], v[88:89]
	v_fma_f64 v[86:87], v[86:87], s[2:3], -v[88:89]
	v_add_f64 v[88:89], v[146:147], v[116:117]
	v_fma_f64 v[116:117], v[42:43], s[2:3], -v[96:97]
	v_fma_f64 v[96:97], v[42:43], s[2:3], v[96:97]
	v_add_f64 v[24:25], v[94:95], v[24:25]
	v_add_f64 v[102:103], v[102:103], v[110:111]
	v_fma_f64 v[110:111], v[70:71], s[2:3], v[92:93]
	v_fma_f64 v[92:93], v[70:71], s[2:3], -v[92:93]
	v_add_f64 v[88:89], v[160:161], v[88:89]
	v_add_f64 v[16:17], v[164:165], v[16:17]
	;; [unrolled: 1-line block ×4, first 2 shown]
	v_mul_f64 v[110:111], v[82:83], s[34:35]
	v_add_f64 v[88:89], v[116:117], v[88:89]
	v_mul_f64 v[116:117], v[42:43], s[18:19]
	v_add_f64 v[20:21], v[92:93], v[20:21]
	v_mul_f64 v[92:93], v[82:83], s[20:21]
	v_mul_f64 v[102:103], v[42:43], s[12:13]
	;; [unrolled: 1-line block ×3, first 2 shown]
	v_add_f64 v[110:111], v[122:123], -v[110:111]
	v_mul_f64 v[122:123], v[36:37], s[16:17]
	v_add_f64 v[116:117], v[116:117], v[118:119]
	v_mul_f64 v[118:119], v[78:79], s[22:23]
	v_add_f64 v[80:81], v[80:81], -v[92:93]
	v_add_f64 v[72:73], v[102:103], v[72:73]
	v_mul_f64 v[102:103], v[78:79], s[20:21]
	v_fma_f64 v[100:101], v[70:71], s[4:5], -v[82:83]
	v_fma_f64 v[70:71], v[70:71], s[4:5], v[82:83]
	v_fma_f64 v[82:83], v[42:43], s[4:5], v[76:77]
	v_fma_f64 v[42:43], v[42:43], s[4:5], -v[76:77]
	v_add_f64 v[76:77], v[86:87], v[84:85]
	v_fma_f64 v[84:85], v[38:39], s[2:3], -v[90:91]
	v_mul_f64 v[78:79], v[78:79], s[28:29]
	v_mul_f64 v[92:93], v[74:75], s[30:31]
	;; [unrolled: 1-line block ×3, first 2 shown]
	v_add_f64 v[98:99], v[110:111], v[4:5]
	v_add_f64 v[40:41], v[122:123], v[40:41]
	;; [unrolled: 1-line block ×3, first 2 shown]
	v_add_f64 v[68:69], v[68:69], -v[118:119]
	v_add_f64 v[12:13], v[80:81], v[12:13]
	v_add_f64 v[72:73], v[72:73], v[14:15]
	v_fma_f64 v[90:91], v[38:39], s[12:13], -v[102:103]
	v_add_f64 v[22:23], v[100:101], v[22:23]
	v_add_f64 v[80:81], v[2:3], v[246:247]
	;; [unrolled: 1-line block ×5, first 2 shown]
	v_fma_f64 v[102:103], v[38:39], s[12:13], v[102:103]
	v_add_f64 v[78:79], v[104:105], -v[78:79]
	v_add_f64 v[104:105], v[0:1], v[244:245]
	v_fma_f64 v[94:95], v[36:37], s[2:3], -v[92:93]
	v_fma_f64 v[86:87], v[36:37], s[2:3], v[92:93]
	v_fma_f64 v[92:93], v[36:37], s[12:13], v[74:75]
	v_add_f64 v[70:71], v[70:71], v[24:25]
	v_fma_f64 v[74:75], v[36:37], s[12:13], -v[74:75]
	v_add_f64 v[76:77], v[42:43], v[76:77]
	v_add_f64 v[2:3], v[114:115], v[26:27]
	;; [unrolled: 1-line block ×9, first 2 shown]
	buffer_load_dword v68, off, s[40:43], 0 offset:644 ; 4-byte Folded Reload
	v_add_f64 v[26:27], v[80:81], v[242:243]
	v_add_f64 v[16:17], v[100:101], v[108:109]
	;; [unrolled: 1-line block ×9, first 2 shown]
	s_waitcnt vmcnt(0)
	v_lshlrev_b32_e32 v68, 4, v68
	ds_write_b128 v68, v[24:27]
	ds_write_b128 v68, v[20:23] offset:16
	ds_write_b128 v68, v[16:19] offset:32
	;; [unrolled: 1-line block ×10, first 2 shown]
.LBB0_17:
	s_or_b32 exec_lo, exec_lo, s1
	s_waitcnt lgkmcnt(0)
	s_barrier
	buffer_gl0_inv
	ds_read_b128 v[12:15], v167
	ds_read_b128 v[8:11], v167 offset:880
	ds_read_b128 v[248:251], v167 offset:3696
	;; [unrolled: 1-line block ×19, first 2 shown]
	s_and_saveexec_b32 s1, s0
	s_cbranch_execz .LBB0_19
; %bb.18:
	ds_read_b128 v[32:35], v167 offset:3520
	ds_read_b128 v[28:31], v167 offset:7216
	;; [unrolled: 1-line block ×3, first 2 shown]
	s_waitcnt lgkmcnt(0)
	buffer_store_dword v96, off, s[40:43], 0 offset:16 ; 4-byte Folded Spill
	buffer_store_dword v97, off, s[40:43], 0 offset:20 ; 4-byte Folded Spill
	;; [unrolled: 1-line block ×4, first 2 shown]
	ds_read_b128 v[96:99], v167 offset:14608
	s_waitcnt lgkmcnt(0)
	buffer_store_dword v96, off, s[40:43], 0 offset:32 ; 4-byte Folded Spill
	buffer_store_dword v97, off, s[40:43], 0 offset:36 ; 4-byte Folded Spill
	buffer_store_dword v98, off, s[40:43], 0 offset:40 ; 4-byte Folded Spill
	buffer_store_dword v99, off, s[40:43], 0 offset:44 ; 4-byte Folded Spill
	ds_read_b128 v[96:99], v167 offset:18304
	s_waitcnt lgkmcnt(0)
	buffer_store_dword v96, off, s[40:43], 0 ; 4-byte Folded Spill
	buffer_store_dword v97, off, s[40:43], 0 offset:4 ; 4-byte Folded Spill
	buffer_store_dword v98, off, s[40:43], 0 offset:8 ; 4-byte Folded Spill
	;; [unrolled: 1-line block ×3, first 2 shown]
.LBB0_19:
	s_or_b32 exec_lo, exec_lo, s1
	s_clause 0x7
	buffer_load_dword v108, off, s[40:43], 0 offset:436
	buffer_load_dword v109, off, s[40:43], 0 offset:440
	;; [unrolled: 1-line block ×8, first 2 shown]
	s_waitcnt lgkmcnt(17)
	v_mul_f64 v[96:97], v[190:191], v[250:251]
	v_mul_f64 v[98:99], v[190:191], v[248:249]
	s_waitcnt lgkmcnt(11)
	v_mul_f64 v[100:101], v[198:199], v[254:255]
	v_mul_f64 v[102:103], v[198:199], v[252:253]
	s_mov_b32 s2, 0x134454ff
	s_mov_b32 s3, 0xbfee6f0e
	;; [unrolled: 1-line block ×10, first 2 shown]
	v_fma_f64 v[96:97], v[188:189], v[248:249], v[96:97]
	v_fma_f64 v[98:99], v[188:189], v[250:251], -v[98:99]
	v_fma_f64 v[100:101], v[196:197], v[252:253], v[100:101]
	v_fma_f64 v[102:103], v[196:197], v[254:255], -v[102:103]
	s_waitcnt vmcnt(4)
	v_mul_f64 v[104:105], v[110:111], v[246:247]
	v_mul_f64 v[106:107], v[110:111], v[244:245]
	s_waitcnt vmcnt(0)
	v_mul_f64 v[110:111], v[114:115], v[240:241]
	v_fma_f64 v[104:105], v[108:109], v[244:245], v[104:105]
	v_fma_f64 v[106:107], v[108:109], v[246:247], -v[106:107]
	v_mul_f64 v[108:109], v[114:115], v[242:243]
	s_clause 0x3
	buffer_load_dword v114, off, s[40:43], 0 offset:628
	buffer_load_dword v115, off, s[40:43], 0 offset:632
	;; [unrolled: 1-line block ×4, first 2 shown]
	v_fma_f64 v[110:111], v[112:113], v[242:243], -v[110:111]
	v_fma_f64 v[108:109], v[112:113], v[240:241], v[108:109]
	v_add_f64 v[126:127], v[104:105], v[108:109]
	v_fma_f64 v[126:127], v[126:127], -0.5, v[12:13]
	s_waitcnt vmcnt(0)
	v_mul_f64 v[112:113], v[116:117], v[94:95]
	v_fma_f64 v[112:113], v[114:115], v[92:93], v[112:113]
	v_mul_f64 v[92:93], v[116:117], v[92:93]
	v_fma_f64 v[92:93], v[114:115], v[94:95], -v[92:93]
	s_clause 0xb
	buffer_load_dword v114, off, s[40:43], 0 offset:516
	buffer_load_dword v115, off, s[40:43], 0 offset:520
	;; [unrolled: 1-line block ×12, first 2 shown]
	s_waitcnt vmcnt(8)
	v_mul_f64 v[94:95], v[116:117], v[90:91]
	v_fma_f64 v[94:95], v[114:115], v[88:89], v[94:95]
	v_mul_f64 v[88:89], v[116:117], v[88:89]
	s_waitcnt vmcnt(4) lgkmcnt(10)
	v_mul_f64 v[116:117], v[120:121], v[80:81]
	v_fma_f64 v[88:89], v[114:115], v[90:91], -v[88:89]
	v_mul_f64 v[90:91], v[178:179], v[86:87]
	v_fma_f64 v[114:115], v[176:177], v[84:85], v[90:91]
	v_mul_f64 v[84:85], v[178:179], v[84:85]
	v_fma_f64 v[86:87], v[176:177], v[86:87], -v[84:85]
	v_mul_f64 v[84:85], v[120:121], v[82:83]
	v_fma_f64 v[90:91], v[118:119], v[80:81], v[84:85]
	v_fma_f64 v[84:85], v[118:119], v[82:83], -v[116:117]
	s_waitcnt vmcnt(0) lgkmcnt(5)
	v_mul_f64 v[116:117], v[132:133], v[74:75]
	v_mul_f64 v[118:119], v[132:133], v[72:73]
	s_clause 0x7
	buffer_load_dword v132, off, s[40:43], 0 offset:420
	buffer_load_dword v133, off, s[40:43], 0 offset:424
	;; [unrolled: 1-line block ×8, first 2 shown]
	v_mul_f64 v[80:81], v[194:195], v[78:79]
	v_mul_f64 v[82:83], v[194:195], v[76:77]
	v_add_f64 v[152:153], v[112:113], -v[90:91]
	v_add_f64 v[154:155], v[84:85], -v[86:87]
	v_fma_f64 v[80:81], v[192:193], v[76:77], v[80:81]
	v_fma_f64 v[76:77], v[192:193], v[78:79], -v[82:83]
	v_fma_f64 v[78:79], v[130:131], v[72:73], v[116:117]
	v_fma_f64 v[72:73], v[130:131], v[74:75], -v[118:119]
	v_add_f64 v[130:131], v[106:107], v[110:111]
	v_fma_f64 v[130:131], v[130:131], -0.5, v[14:15]
	s_waitcnt vmcnt(4) lgkmcnt(3)
	v_mul_f64 v[82:83], v[134:135], v[70:71]
	s_waitcnt vmcnt(0) lgkmcnt(1)
	v_mul_f64 v[122:123], v[138:139], v[42:43]
	v_mul_f64 v[124:125], v[138:139], v[40:41]
	s_clause 0x7
	buffer_load_dword v138, off, s[40:43], 0 offset:468
	buffer_load_dword v139, off, s[40:43], 0 offset:472
	buffer_load_dword v140, off, s[40:43], 0 offset:476
	buffer_load_dword v141, off, s[40:43], 0 offset:480
	buffer_load_dword v142, off, s[40:43], 0 offset:324
	buffer_load_dword v143, off, s[40:43], 0 offset:328
	buffer_load_dword v144, off, s[40:43], 0 offset:332
	buffer_load_dword v145, off, s[40:43], 0 offset:336
	v_mul_f64 v[120:121], v[134:135], v[68:69]
	s_clause 0x3
	buffer_load_dword v148, off, s[40:43], 0 offset:356
	buffer_load_dword v149, off, s[40:43], 0 offset:360
	;; [unrolled: 1-line block ×4, first 2 shown]
	v_fma_f64 v[74:75], v[132:133], v[68:69], v[82:83]
	v_fma_f64 v[68:69], v[136:137], v[40:41], v[122:123]
	v_fma_f64 v[40:41], v[136:137], v[42:43], -v[124:125]
	v_add_f64 v[136:137], v[96:97], v[100:101]
	v_fma_f64 v[70:71], v[132:133], v[70:71], -v[120:121]
	s_waitcnt vmcnt(8)
	v_mul_f64 v[116:117], v[140:141], v[38:39]
	s_waitcnt vmcnt(4)
	v_mul_f64 v[82:83], v[144:145], v[26:27]
	v_mul_f64 v[120:121], v[144:145], v[24:25]
	s_clause 0x3
	buffer_load_dword v144, off, s[40:43], 0 offset:340
	buffer_load_dword v145, off, s[40:43], 0 offset:344
	;; [unrolled: 1-line block ×4, first 2 shown]
	v_mul_f64 v[118:119], v[140:141], v[36:37]
	s_waitcnt vmcnt(4)
	v_mul_f64 v[132:133], v[150:151], v[18:19]
	v_mul_f64 v[134:135], v[150:151], v[16:17]
	v_add_f64 v[140:141], v[96:97], -v[100:101]
	v_add_f64 v[150:151], v[88:89], -v[86:87]
	s_waitcnt vmcnt(0) lgkmcnt(0)
	s_waitcnt_vscnt null, 0x0
	s_barrier
	buffer_gl0_inv
	v_fma_f64 v[42:43], v[138:139], v[36:37], v[116:117]
	v_add_f64 v[116:117], v[12:13], v[96:97]
	v_fma_f64 v[82:83], v[142:143], v[24:25], v[82:83]
	v_fma_f64 v[12:13], v[136:137], -0.5, v[12:13]
	v_fma_f64 v[36:37], v[138:139], v[38:39], -v[118:119]
	v_add_f64 v[138:139], v[98:99], -v[102:103]
	v_add_f64 v[118:119], v[14:15], v[98:99]
	v_fma_f64 v[38:39], v[142:143], v[26:27], -v[120:121]
	v_fma_f64 v[26:27], v[148:149], v[16:17], v[132:133]
	v_add_f64 v[120:121], v[98:99], v[102:103]
	v_fma_f64 v[24:25], v[148:149], v[18:19], -v[134:135]
	v_add_f64 v[134:135], v[102:103], -v[110:111]
	v_add_f64 v[136:137], v[94:95], v[114:115]
	v_add_f64 v[142:143], v[104:105], -v[108:109]
	v_add_f64 v[148:149], v[88:89], v[86:87]
	v_fma_f64 v[132:133], v[138:139], s[2:3], v[126:127]
	v_add_f64 v[118:119], v[118:119], v[106:107]
	v_fma_f64 v[126:127], v[138:139], s[4:5], v[126:127]
	v_fma_f64 v[14:15], v[120:121], -0.5, v[14:15]
	v_add_f64 v[120:121], v[108:109], -v[100:101]
	v_add_f64 v[118:119], v[118:119], v[110:111]
	v_mul_f64 v[122:123], v[146:147], v[22:23]
	v_mul_f64 v[124:125], v[146:147], v[20:21]
	v_add_f64 v[146:147], v[112:113], v[90:91]
	v_fma_f64 v[18:19], v[144:145], v[20:21], v[122:123]
	v_fma_f64 v[16:17], v[144:145], v[22:23], -v[124:125]
	v_add_f64 v[20:21], v[106:107], -v[110:111]
	v_add_f64 v[22:23], v[116:117], v[104:105]
	v_add_f64 v[124:125], v[98:99], -v[106:107]
	v_fma_f64 v[144:145], v[140:141], s[4:5], v[130:131]
	v_add_f64 v[116:117], v[96:97], -v[104:105]
	v_add_f64 v[122:123], v[100:101], -v[108:109]
	;; [unrolled: 1-line block ×3, first 2 shown]
	v_fma_f64 v[106:107], v[140:141], s[2:3], v[130:131]
	v_add_f64 v[96:97], v[104:105], -v[96:97]
	v_add_f64 v[104:105], v[92:93], v[84:85]
	v_add_f64 v[110:111], v[110:111], -v[102:103]
	v_fma_f64 v[130:131], v[20:21], s[12:13], v[132:133]
	v_add_f64 v[22:23], v[22:23], v[108:109]
	v_add_f64 v[124:125], v[124:125], v[134:135]
	v_fma_f64 v[132:133], v[136:137], -0.5, v[8:9]
	v_fma_f64 v[134:135], v[142:143], s[14:15], v[144:145]
	v_fma_f64 v[136:137], v[146:147], -0.5, v[8:9]
	v_add_f64 v[146:147], v[10:11], v[92:93]
	v_add_f64 v[108:109], v[8:9], v[112:113]
	;; [unrolled: 1-line block ×3, first 2 shown]
	v_fma_f64 v[122:123], v[20:21], s[4:5], v[12:13]
	v_fma_f64 v[12:13], v[20:21], s[2:3], v[12:13]
	;; [unrolled: 1-line block ×3, first 2 shown]
	v_add_f64 v[126:127], v[92:93], -v[84:85]
	v_fma_f64 v[144:145], v[148:149], -0.5, v[10:11]
	v_fma_f64 v[148:149], v[142:143], s[2:3], v[14:15]
	v_fma_f64 v[104:105], v[104:105], -0.5, v[10:11]
	v_fma_f64 v[106:107], v[142:143], s[12:13], v[106:107]
	v_add_f64 v[10:11], v[118:119], v[102:103]
	v_add_f64 v[102:103], v[90:91], -v[114:115]
	v_add_f64 v[96:97], v[96:97], v[120:121]
	v_add_f64 v[110:111], v[98:99], v[110:111]
	v_add_f64 v[8:9], v[22:23], v[100:101]
	v_fma_f64 v[22:23], v[142:143], s[4:5], v[14:15]
	v_add_f64 v[100:101], v[112:113], -v[94:95]
	v_fma_f64 v[14:15], v[124:125], s[16:17], v[134:135]
	v_add_f64 v[112:113], v[94:95], -v[112:113]
	v_add_f64 v[134:135], v[146:147], v[88:89]
	v_add_f64 v[108:109], v[108:109], v[94:95]
	;; [unrolled: 1-line block ×3, first 2 shown]
	v_fma_f64 v[118:119], v[138:139], s[12:13], v[122:123]
	v_fma_f64 v[120:121], v[138:139], s[14:15], v[12:13]
	;; [unrolled: 1-line block ×5, first 2 shown]
	v_add_f64 v[132:133], v[114:115], -v[90:91]
	v_fma_f64 v[138:139], v[140:141], s[14:15], v[148:149]
	v_add_f64 v[146:147], v[94:95], -v[114:115]
	v_add_f64 v[148:149], v[92:93], -v[88:89]
	v_fma_f64 v[156:157], v[152:153], s[4:5], v[144:145]
	v_fma_f64 v[20:21], v[116:117], s[16:17], v[20:21]
	;; [unrolled: 1-line block ×3, first 2 shown]
	v_add_f64 v[144:145], v[80:81], v[68:69]
	v_fma_f64 v[140:141], v[140:141], s[12:13], v[22:23]
	v_fma_f64 v[22:23], v[124:125], s[16:17], v[106:107]
	v_fma_f64 v[106:107], v[150:151], s[4:5], v[136:137]
	v_fma_f64 v[124:125], v[150:151], s[2:3], v[136:137]
	v_add_f64 v[134:135], v[134:135], v[86:87]
	v_add_f64 v[108:109], v[108:109], v[114:115]
	;; [unrolled: 1-line block ×3, first 2 shown]
	v_fma_f64 v[94:95], v[96:97], s[16:17], v[118:119]
	v_fma_f64 v[98:99], v[96:97], s[16:17], v[120:121]
	v_fma_f64 v[118:119], v[142:143], -0.5, v[4:5]
	v_fma_f64 v[114:115], v[150:151], s[12:13], v[122:123]
	v_fma_f64 v[122:123], v[150:151], s[14:15], v[130:131]
	v_add_f64 v[130:131], v[4:5], v[80:81]
	v_add_f64 v[112:113], v[112:113], v[132:133]
	v_fma_f64 v[96:97], v[110:111], s[16:17], v[138:139]
	v_add_f64 v[120:121], v[148:149], v[154:155]
	v_fma_f64 v[132:133], v[146:147], s[14:15], v[156:157]
	v_add_f64 v[136:137], v[76:77], -v[40:41]
	v_add_f64 v[138:139], v[72:73], v[70:71]
	v_fma_f64 v[116:117], v[146:147], s[12:13], v[116:117]
	v_fma_f64 v[4:5], v[144:145], -0.5, v[4:5]
	v_add_f64 v[142:143], v[76:77], v[40:41]
	v_fma_f64 v[100:101], v[110:111], s[16:17], v[140:141]
	v_add_f64 v[110:111], v[72:73], -v[70:71]
	v_fma_f64 v[140:141], v[146:147], s[2:3], v[104:105]
	v_add_f64 v[144:145], v[88:89], -v[92:93]
	v_add_f64 v[148:149], v[86:87], -v[84:85]
	v_fma_f64 v[146:147], v[146:147], s[4:5], v[104:105]
	v_add_f64 v[88:89], v[134:135], v[84:85]
	v_add_f64 v[134:135], v[6:7], v[76:77]
	v_fma_f64 v[106:107], v[126:127], s[12:13], v[106:107]
	v_add_f64 v[86:87], v[108:109], v[90:91]
	v_add_f64 v[84:85], v[80:81], -v[78:79]
	v_fma_f64 v[124:125], v[126:127], s[14:15], v[124:125]
	v_add_f64 v[108:109], v[130:131], v[78:79]
	v_add_f64 v[130:131], v[68:69], -v[74:75]
	v_fma_f64 v[90:91], v[102:103], s[16:17], v[114:115]
	v_fma_f64 v[102:103], v[102:103], s[16:17], v[122:123]
	;; [unrolled: 1-line block ×3, first 2 shown]
	v_add_f64 v[114:115], v[82:83], v[26:27]
	v_fma_f64 v[122:123], v[138:139], -0.5, v[6:7]
	v_add_f64 v[126:127], v[80:81], -v[68:69]
	v_fma_f64 v[132:133], v[136:137], s[2:3], v[118:119]
	v_fma_f64 v[104:105], v[120:121], s[16:17], v[116:117]
	;; [unrolled: 1-line block ×4, first 2 shown]
	v_fma_f64 v[6:7], v[142:143], -0.5, v[6:7]
	v_add_f64 v[80:81], v[78:79], -v[80:81]
	v_add_f64 v[120:121], v[144:145], v[148:149]
	v_add_f64 v[138:139], v[42:43], v[18:19]
	v_fma_f64 v[140:141], v[152:153], s[14:15], v[140:141]
	v_fma_f64 v[144:145], v[152:153], s[12:13], v[146:147]
	;; [unrolled: 1-line block ×3, first 2 shown]
	v_add_f64 v[134:135], v[134:135], v[72:73]
	v_add_f64 v[78:79], v[78:79], -v[74:75]
	v_add_f64 v[150:151], v[76:77], -v[72:73]
	;; [unrolled: 1-line block ×4, first 2 shown]
	v_add_f64 v[146:147], v[38:39], v[24:25]
	v_add_f64 v[148:149], v[36:37], v[16:17]
	;; [unrolled: 1-line block ×4, first 2 shown]
	v_fma_f64 v[108:109], v[114:115], -0.5, v[0:1]
	v_fma_f64 v[114:115], v[126:127], s[4:5], v[122:123]
	v_add_f64 v[130:131], v[36:37], -v[16:17]
	v_fma_f64 v[132:133], v[110:111], s[12:13], v[132:133]
	v_fma_f64 v[122:123], v[126:127], s[2:3], v[122:123]
	;; [unrolled: 1-line block ×3, first 2 shown]
	v_add_f64 v[116:117], v[0:1], v[42:43]
	v_add_f64 v[72:73], v[72:73], -v[76:77]
	v_add_f64 v[76:77], v[70:71], -v[40:41]
	v_fma_f64 v[118:119], v[136:137], s[12:13], v[118:119]
	v_fma_f64 v[0:1], v[138:139], -0.5, v[0:1]
	v_add_f64 v[138:139], v[2:3], v[36:37]
	v_fma_f64 v[136:137], v[136:137], s[14:15], v[4:5]
	v_add_f64 v[70:71], v[134:135], v[70:71]
	v_fma_f64 v[4:5], v[78:79], s[2:3], v[6:7]
	v_fma_f64 v[6:7], v[78:79], s[4:5], v[6:7]
	v_add_f64 v[134:135], v[150:151], v[152:153]
	v_add_f64 v[150:151], v[38:39], -v[24:25]
	v_add_f64 v[80:81], v[80:81], v[142:143]
	v_fma_f64 v[142:143], v[146:147], -0.5, v[2:3]
	v_fma_f64 v[2:3], v[148:149], -0.5, v[2:3]
	v_add_f64 v[146:147], v[42:43], -v[82:83]
	v_add_f64 v[148:149], v[18:19], -v[26:27]
	v_fma_f64 v[114:115], v[78:79], s[14:15], v[114:115]
	v_fma_f64 v[152:153], v[130:131], s[2:3], v[108:109]
	v_fma_f64 v[108:109], v[130:131], s[4:5], v[108:109]
	v_fma_f64 v[78:79], v[78:79], s[12:13], v[122:123]
	v_add_f64 v[122:123], v[42:43], -v[18:19]
	v_add_f64 v[116:117], v[116:117], v[82:83]
	v_add_f64 v[42:43], v[82:83], -v[42:43]
	v_add_f64 v[154:155], v[72:73], v[76:77]
	v_add_f64 v[72:73], v[26:27], -v[18:19]
	v_add_f64 v[76:77], v[82:83], -v[26:27]
	v_add_f64 v[82:83], v[138:139], v[38:39]
	v_fma_f64 v[138:139], v[126:127], s[14:15], v[4:5]
	v_fma_f64 v[126:127], v[126:127], s[12:13], v[6:7]
	v_add_f64 v[4:5], v[36:37], -v[38:39]
	v_add_f64 v[6:7], v[38:39], -v[36:37]
	v_fma_f64 v[36:37], v[150:151], s[4:5], v[0:1]
	v_fma_f64 v[0:1], v[150:151], s[2:3], v[0:1]
	v_add_f64 v[38:39], v[16:17], -v[24:25]
	v_add_f64 v[146:147], v[146:147], v[148:149]
	v_fma_f64 v[148:149], v[150:151], s[12:13], v[152:153]
	v_fma_f64 v[108:109], v[150:151], s[14:15], v[108:109]
	;; [unrolled: 1-line block ×3, first 2 shown]
	v_add_f64 v[116:117], v[116:117], v[26:27]
	v_add_f64 v[26:27], v[24:25], -v[16:17]
	v_fma_f64 v[142:143], v[122:123], s[2:3], v[142:143]
	v_add_f64 v[42:43], v[42:43], v[72:73]
	v_fma_f64 v[72:73], v[76:77], s[2:3], v[2:3]
	v_add_f64 v[82:83], v[82:83], v[24:25]
	v_add_f64 v[24:25], v[74:75], v[68:69]
	v_fma_f64 v[68:69], v[84:85], s[16:17], v[110:111]
	v_fma_f64 v[2:3], v[76:77], s[4:5], v[2:3]
	v_fma_f64 v[74:75], v[154:155], s[16:17], v[138:139]
	v_fma_f64 v[152:153], v[130:131], s[12:13], v[36:37]
	v_fma_f64 v[130:131], v[130:131], s[14:15], v[0:1]
	v_add_f64 v[156:157], v[4:5], v[38:39]
	v_fma_f64 v[38:39], v[134:135], s[16:17], v[114:115]
	v_fma_f64 v[0:1], v[112:113], s[16:17], v[106:107]
	;; [unrolled: 1-line block ×6, first 2 shown]
	v_add_f64 v[158:159], v[6:7], v[26:27]
	v_fma_f64 v[6:7], v[120:121], s[16:17], v[144:145]
	v_add_f64 v[26:27], v[70:71], v[40:41]
	v_fma_f64 v[112:113], v[122:123], s[14:15], v[72:73]
	v_fma_f64 v[72:73], v[80:81], s[16:17], v[118:119]
	;; [unrolled: 1-line block ×10, first 2 shown]
	v_add_f64 v[42:43], v[82:83], v[16:17]
	buffer_load_dword v16, off, s[40:43], 0 offset:308 ; 4-byte Folded Reload
	v_add_f64 v[40:41], v[116:117], v[18:19]
	v_fma_f64 v[80:81], v[146:147], s[16:17], v[148:149]
	s_waitcnt vmcnt(0)
	ds_write_b128 v16, v[8:11]
	ds_write_b128 v16, v[12:15] offset:176
	ds_write_b128 v16, v[94:97] offset:352
	;; [unrolled: 1-line block ×4, first 2 shown]
	buffer_load_dword v8, off, s[40:43], 0 offset:320 ; 4-byte Folded Reload
	v_fma_f64 v[82:83], v[156:157], s[16:17], v[150:151]
	v_fma_f64 v[112:113], v[158:159], s[16:17], v[112:113]
	;; [unrolled: 1-line block ×4, first 2 shown]
	s_waitcnt vmcnt(0)
	ds_write_b128 v8, v[86:89]
	ds_write_b128 v8, v[90:93] offset:176
	ds_write_b128 v8, v[0:3] offset:352
	;; [unrolled: 1-line block ×4, first 2 shown]
	buffer_load_dword v0, off, s[40:43], 0 offset:316 ; 4-byte Folded Reload
	s_waitcnt vmcnt(0)
	ds_write_b128 v0, v[24:27]
	ds_write_b128 v0, v[36:39] offset:176
	ds_write_b128 v0, v[72:75] offset:352
	;; [unrolled: 1-line block ×4, first 2 shown]
	buffer_load_dword v0, off, s[40:43], 0 offset:312 ; 4-byte Folded Reload
	s_waitcnt vmcnt(0)
	ds_write_b128 v0, v[40:43]
	ds_write_b128 v0, v[80:83] offset:176
	ds_write_b128 v0, v[110:113] offset:352
	ds_write_b128 v0, v[114:117] offset:528
	ds_write_b128 v0, v[106:109] offset:704
	s_and_saveexec_b32 s1, s0
	s_cbranch_execz .LBB0_21
; %bb.20:
	s_clause 0x1b
	buffer_load_dword v20, off, s[40:43], 0 offset:664
	buffer_load_dword v21, off, s[40:43], 0 offset:668
	;; [unrolled: 1-line block ×16, first 2 shown]
	buffer_load_dword v40, off, s[40:43], 0
	buffer_load_dword v41, off, s[40:43], 0 offset:4
	buffer_load_dword v42, off, s[40:43], 0 offset:8
	;; [unrolled: 1-line block ×11, first 2 shown]
	s_waitcnt vmcnt(22)
	v_mul_f64 v[0:1], v[22:23], v[68:69]
	s_waitcnt vmcnt(16)
	v_mul_f64 v[2:3], v[18:19], v[28:29]
	;; [unrolled: 2-line block ×4, first 2 shown]
	v_mul_f64 v[8:9], v[22:23], v[70:71]
	s_waitcnt vmcnt(0)
	v_mul_f64 v[10:11], v[26:27], v[74:75]
	v_mul_f64 v[12:13], v[18:19], v[30:31]
	;; [unrolled: 1-line block ×3, first 2 shown]
	v_fma_f64 v[0:1], v[20:21], v[70:71], -v[0:1]
	v_fma_f64 v[2:3], v[16:17], v[30:31], -v[2:3]
	;; [unrolled: 1-line block ×4, first 2 shown]
	v_fma_f64 v[8:9], v[20:21], v[68:69], v[8:9]
	v_fma_f64 v[10:11], v[24:25], v[72:73], v[10:11]
	;; [unrolled: 1-line block ×4, first 2 shown]
	v_add_f64 v[28:29], v[34:35], v[2:3]
	v_add_f64 v[16:17], v[2:3], v[4:5]
	;; [unrolled: 1-line block ×3, first 2 shown]
	v_add_f64 v[36:37], v[2:3], -v[4:5]
	v_add_f64 v[20:21], v[8:9], v[10:11]
	v_add_f64 v[24:25], v[8:9], -v[10:11]
	v_add_f64 v[22:23], v[12:13], v[14:15]
	;; [unrolled: 2-line block ×3, first 2 shown]
	v_add_f64 v[38:39], v[6:7], -v[4:5]
	v_add_f64 v[40:41], v[4:5], -v[6:7]
	v_add_f64 v[42:43], v[8:9], -v[12:13]
	v_add_f64 v[12:13], v[12:13], -v[8:9]
	v_add_f64 v[70:71], v[14:15], -v[10:11]
	v_add_f64 v[68:69], v[10:11], -v[14:15]
	v_fma_f64 v[16:17], v[16:17], -0.5, v[34:35]
	v_fma_f64 v[18:19], v[18:19], -0.5, v[34:35]
	v_add_f64 v[34:35], v[0:1], -v[6:7]
	v_fma_f64 v[20:21], v[20:21], -0.5, v[32:33]
	v_fma_f64 v[22:23], v[22:23], -0.5, v[32:33]
	v_add_f64 v[32:33], v[0:1], -v[2:3]
	v_add_f64 v[2:3], v[2:3], -v[0:1]
	v_add_f64 v[0:1], v[28:29], v[0:1]
	v_add_f64 v[8:9], v[30:31], v[8:9]
	;; [unrolled: 1-line block ×3, first 2 shown]
	v_fma_f64 v[28:29], v[24:25], s[4:5], v[16:17]
	v_fma_f64 v[16:17], v[24:25], s[2:3], v[16:17]
	;; [unrolled: 1-line block ×6, first 2 shown]
	v_add_f64 v[32:33], v[32:33], v[38:39]
	v_add_f64 v[38:39], v[2:3], v[40:41]
	;; [unrolled: 1-line block ×4, first 2 shown]
	v_fma_f64 v[74:75], v[34:35], s[4:5], v[22:23]
	v_fma_f64 v[22:23], v[34:35], s[2:3], v[22:23]
	v_add_f64 v[40:41], v[42:43], v[68:69]
	v_fma_f64 v[8:9], v[26:27], s[12:13], v[28:29]
	v_fma_f64 v[10:11], v[26:27], s[14:15], v[16:17]
	;; [unrolled: 1-line block ×6, first 2 shown]
	v_add_f64 v[2:3], v[0:1], v[4:5]
	v_add_f64 v[0:1], v[6:7], v[14:15]
	v_fma_f64 v[26:27], v[36:37], s[12:13], v[74:75]
	v_fma_f64 v[22:23], v[36:37], s[14:15], v[22:23]
	;; [unrolled: 1-line block ×8, first 2 shown]
	buffer_load_dword v21, off, s[40:43], 0 offset:304 ; 4-byte Folded Reload
	v_mov_b32_e32 v20, 4
	v_fma_f64 v[8:9], v[40:41], s[16:17], v[26:27]
	v_fma_f64 v[4:5], v[40:41], s[16:17], v[22:23]
	s_waitcnt vmcnt(0)
	v_lshlrev_b32_sdwa v20, v20, v21 dst_sel:DWORD dst_unused:UNUSED_PAD src0_sel:DWORD src1_sel:WORD_0
	ds_write_b128 v20, v[0:3] offset:17600
	ds_write_b128 v20, v[16:19] offset:17776
	;; [unrolled: 1-line block ×5, first 2 shown]
.LBB0_21:
	s_or_b32 exec_lo, exec_lo, s1
	s_waitcnt lgkmcnt(0)
	s_barrier
	buffer_gl0_inv
	ds_read_b128 v[0:3], v167 offset:2640
	ds_read_b128 v[4:7], v167 offset:1760
	s_mov_b32 s14, 0xe976ee23
	s_mov_b32 s15, 0x3fe11646
	;; [unrolled: 1-line block ×18, first 2 shown]
	s_waitcnt lgkmcnt(1)
	v_mul_f64 v[8:9], v[62:63], v[2:3]
	s_mov_b32 s20, s12
	s_mov_b32 s18, s22
	v_fma_f64 v[32:33], v[60:61], v[0:1], v[8:9]
	v_mul_f64 v[0:1], v[62:63], v[0:1]
	v_fma_f64 v[34:35], v[60:61], v[2:3], -v[0:1]
	ds_read_b128 v[0:3], v167 offset:3520
	ds_read_b128 v[8:11], v167 offset:4400
	s_waitcnt lgkmcnt(1)
	v_mul_f64 v[12:13], v[62:63], v[2:3]
	v_fma_f64 v[36:37], v[60:61], v[0:1], v[12:13]
	v_mul_f64 v[0:1], v[62:63], v[0:1]
	v_fma_f64 v[38:39], v[60:61], v[2:3], -v[0:1]
	ds_read_b128 v[0:3], v167 offset:5280
	ds_read_b128 v[12:15], v167 offset:6160
	s_waitcnt lgkmcnt(1)
	v_mul_f64 v[16:17], v[54:55], v[2:3]
	v_fma_f64 v[40:41], v[52:53], v[0:1], v[16:17]
	v_mul_f64 v[0:1], v[54:55], v[0:1]
	v_fma_f64 v[42:43], v[52:53], v[2:3], -v[0:1]
	s_waitcnt lgkmcnt(0)
	v_mul_f64 v[0:1], v[54:55], v[14:15]
	v_fma_f64 v[60:61], v[52:53], v[12:13], v[0:1]
	v_mul_f64 v[0:1], v[54:55], v[12:13]
	v_fma_f64 v[52:53], v[52:53], v[14:15], -v[0:1]
	ds_read_b128 v[0:3], v167 offset:7920
	ds_read_b128 v[12:15], v167 offset:7040
	s_waitcnt lgkmcnt(1)
	v_mul_f64 v[16:17], v[50:51], v[2:3]
	v_fma_f64 v[54:55], v[48:49], v[0:1], v[16:17]
	v_mul_f64 v[0:1], v[50:51], v[0:1]
	v_fma_f64 v[62:63], v[48:49], v[2:3], -v[0:1]
	ds_read_b128 v[0:3], v167 offset:8800
	ds_read_b128 v[16:19], v167 offset:9680
	;; [unrolled: 7-line block ×3, first 2 shown]
	s_waitcnt lgkmcnt(1)
	v_mul_f64 v[24:25], v[46:47], v[2:3]
	v_fma_f64 v[50:51], v[44:45], v[0:1], v[24:25]
	v_mul_f64 v[0:1], v[46:47], v[0:1]
	v_fma_f64 v[70:71], v[44:45], v[2:3], -v[0:1]
	s_waitcnt lgkmcnt(0)
	v_mul_f64 v[0:1], v[46:47], v[22:23]
	v_fma_f64 v[72:73], v[44:45], v[20:21], v[0:1]
	v_mul_f64 v[0:1], v[46:47], v[20:21]
	v_add_f64 v[108:109], v[68:69], v[72:73]
	v_fma_f64 v[44:45], v[44:45], v[22:23], -v[0:1]
	ds_read_b128 v[0:3], v167 offset:13200
	ds_read_b128 v[20:23], v167 offset:12320
	s_waitcnt lgkmcnt(1)
	v_mul_f64 v[24:25], v[66:67], v[2:3]
	v_add_f64 v[116:117], v[48:49], v[44:45]
	v_add_f64 v[44:45], v[44:45], -v[48:49]
	v_fma_f64 v[46:47], v[64:65], v[0:1], v[24:25]
	v_mul_f64 v[0:1], v[66:67], v[0:1]
	v_fma_f64 v[74:75], v[64:65], v[2:3], -v[0:1]
	ds_read_b128 v[0:3], v167 offset:14080
	ds_read_b128 v[24:27], v167 offset:14960
	s_waitcnt lgkmcnt(1)
	v_mul_f64 v[28:29], v[66:67], v[2:3]
	v_fma_f64 v[76:77], v[64:65], v[0:1], v[28:29]
	v_mul_f64 v[0:1], v[66:67], v[0:1]
	v_add_f64 v[106:107], v[60:61], v[76:77]
	v_fma_f64 v[64:65], v[64:65], v[2:3], -v[0:1]
	ds_read_b128 v[0:3], v167 offset:15840
	ds_read_b128 v[28:31], v167 offset:16720
	s_waitcnt lgkmcnt(1)
	v_mul_f64 v[66:67], v[58:59], v[2:3]
	v_add_f64 v[114:115], v[52:53], v[64:65]
	v_fma_f64 v[66:67], v[56:57], v[0:1], v[66:67]
	v_mul_f64 v[0:1], v[58:59], v[0:1]
	v_fma_f64 v[78:79], v[56:57], v[2:3], -v[0:1]
	s_waitcnt lgkmcnt(0)
	v_mul_f64 v[0:1], v[58:59], v[30:31]
	v_fma_f64 v[80:81], v[56:57], v[28:29], v[0:1]
	v_mul_f64 v[0:1], v[58:59], v[28:29]
	v_add_f64 v[58:59], v[36:37], v[80:81]
	v_fma_f64 v[56:57], v[56:57], v[30:31], -v[0:1]
	s_clause 0x3
	buffer_load_dword v28, off, s[40:43], 0 offset:372
	buffer_load_dword v29, off, s[40:43], 0 offset:376
	;; [unrolled: 1-line block ×4, first 2 shown]
	v_add_f64 v[48:49], v[36:37], -v[80:81]
	v_add_f64 v[112:113], v[38:39], v[56:57]
	s_waitcnt vmcnt(0)
	v_mul_f64 v[0:1], v[30:31], v[10:11]
	v_fma_f64 v[82:83], v[28:29], v[8:9], v[0:1]
	v_mul_f64 v[0:1], v[30:31], v[8:9]
	v_add_f64 v[30:31], v[50:51], -v[54:55]
	v_fma_f64 v[84:85], v[28:29], v[10:11], -v[0:1]
	s_clause 0x3
	buffer_load_dword v8, off, s[40:43], 0 offset:388
	buffer_load_dword v9, off, s[40:43], 0 offset:392
	;; [unrolled: 1-line block ×4, first 2 shown]
	v_add_f64 v[28:29], v[106:107], v[58:59]
	v_add_f64 v[110:111], v[108:109], v[28:29]
	;; [unrolled: 1-line block ×4, first 2 shown]
	s_waitcnt vmcnt(0)
	v_mul_f64 v[0:1], v[10:11], v[14:15]
	v_fma_f64 v[86:87], v[8:9], v[12:13], v[0:1]
	v_mul_f64 v[0:1], v[10:11], v[12:13]
	v_add_f64 v[12:13], v[40:41], v[46:47]
	v_fma_f64 v[88:89], v[8:9], v[14:15], -v[0:1]
	v_mul_f64 v[0:1], v[214:215], v[26:27]
	v_fma_f64 v[90:91], v[212:213], v[24:25], v[0:1]
	v_mul_f64 v[0:1], v[214:215], v[24:25]
	v_add_f64 v[24:25], v[34:35], v[78:79]
	v_add_f64 v[34:35], v[34:35], -v[78:79]
	v_add_f64 v[122:123], v[86:87], v[90:91]
	v_fma_f64 v[92:93], v[212:213], v[26:27], -v[0:1]
	ds_read_b128 v[0:3], v167 offset:17600
	v_add_f64 v[26:27], v[62:63], v[70:71]
	s_waitcnt lgkmcnt(0)
	v_mul_f64 v[8:9], v[210:211], v[2:3]
	v_add_f64 v[132:133], v[88:89], v[92:93]
	v_fma_f64 v[94:95], v[208:209], v[0:1], v[8:9]
	v_mul_f64 v[0:1], v[210:211], v[0:1]
	v_add_f64 v[120:121], v[82:83], v[94:95]
	v_fma_f64 v[96:97], v[208:209], v[2:3], -v[0:1]
	v_mul_f64 v[0:1], v[206:207], v[18:19]
	v_add_f64 v[28:29], v[122:123], v[120:121]
	v_add_f64 v[130:131], v[84:85], v[96:97]
	v_fma_f64 v[98:99], v[204:205], v[16:17], v[0:1]
	v_mul_f64 v[0:1], v[206:207], v[16:17]
	v_add_f64 v[16:17], v[42:43], v[74:75]
	v_fma_f64 v[100:101], v[204:205], v[18:19], -v[0:1]
	v_mul_f64 v[0:1], v[202:203], v[22:23]
	v_add_f64 v[78:79], v[16:17], -v[24:25]
	v_fma_f64 v[102:103], v[200:201], v[20:21], v[0:1]
	v_mul_f64 v[0:1], v[202:203], v[20:21]
	v_add_f64 v[20:21], v[32:33], v[66:67]
	v_add_f64 v[32:33], v[32:33], -v[66:67]
	v_add_f64 v[124:125], v[98:99], v[102:103]
	v_fma_f64 v[104:105], v[200:201], v[22:23], -v[0:1]
	v_add_f64 v[22:23], v[54:55], v[50:51]
	v_add_f64 v[0:1], v[12:13], v[20:21]
	;; [unrolled: 1-line block ×7, first 2 shown]
	v_add_f64 v[66:67], v[22:23], -v[12:13]
	v_add_f64 v[4:5], v[4:5], v[126:127]
	v_add_f64 v[136:137], v[134:135], v[28:29]
	v_add_f64 v[28:29], v[40:41], -v[46:47]
	v_add_f64 v[40:41], v[42:43], -v[74:75]
	;; [unrolled: 1-line block ×3, first 2 shown]
	v_add_f64 v[18:19], v[26:27], v[0:1]
	v_add_f64 v[70:71], v[12:13], -v[20:21]
	v_add_f64 v[20:21], v[20:21], -v[22:23]
	;; [unrolled: 1-line block ×3, first 2 shown]
	ds_read_b128 v[0:3], v167
	ds_read_b128 v[8:11], v167 offset:880
	v_add_f64 v[74:75], v[26:27], -v[16:17]
	v_mul_f64 v[12:13], v[66:67], s[2:3]
	s_waitcnt lgkmcnt(0)
	s_barrier
	buffer_gl0_inv
	v_add_f64 v[6:7], v[6:7], v[136:137]
	v_add_f64 v[46:47], v[30:31], -v[28:29]
	v_add_f64 v[50:51], v[28:29], -v[32:33]
	v_add_f64 v[28:29], v[30:31], v[28:29]
	v_add_f64 v[54:55], v[42:43], -v[40:41]
	v_add_f64 v[62:63], v[40:41], -v[34:35]
	v_add_f64 v[40:41], v[42:43], v[40:41]
	v_add_f64 v[0:1], v[0:1], v[14:15]
	;; [unrolled: 1-line block ×3, first 2 shown]
	v_add_f64 v[30:31], v[32:33], -v[30:31]
	v_add_f64 v[8:9], v[8:9], v[110:111]
	v_add_f64 v[10:11], v[10:11], v[118:119]
	v_fma_f64 v[12:13], v[70:71], s[22:23], -v[12:13]
	v_mul_f64 v[46:47], v[46:47], s[14:15]
	v_mul_f64 v[24:25], v[50:51], s[4:5]
	v_add_f64 v[28:29], v[28:29], v[32:33]
	v_mul_f64 v[54:55], v[54:55], s[14:15]
	v_add_f64 v[32:33], v[34:35], -v[42:43]
	v_add_f64 v[40:41], v[40:41], v[34:35]
	v_mul_f64 v[26:27], v[62:63], s[4:5]
	v_mul_f64 v[34:35], v[20:21], s[16:17]
	;; [unrolled: 1-line block ×3, first 2 shown]
	v_fma_f64 v[138:139], v[14:15], s[24:25], v[0:1]
	v_fma_f64 v[140:141], v[18:19], s[24:25], v[2:3]
	v_mul_f64 v[14:15], v[74:75], s[2:3]
	v_fma_f64 v[16:17], v[50:51], s[4:5], -v[46:47]
	v_fma_f64 v[20:21], v[30:31], s[20:21], -v[24:25]
	v_fma_f64 v[30:31], v[30:31], s[12:13], v[46:47]
	v_fma_f64 v[22:23], v[32:33], s[20:21], -v[26:27]
	v_fma_f64 v[24:25], v[70:71], s[18:19], -v[34:35]
	;; [unrolled: 1-line block ×3, first 2 shown]
	v_fma_f64 v[32:33], v[32:33], s[12:13], v[54:55]
	v_fma_f64 v[34:35], v[66:67], s[2:3], v[34:35]
	;; [unrolled: 1-line block ×4, first 2 shown]
	v_fma_f64 v[14:15], v[78:79], s[22:23], -v[14:15]
	v_add_f64 v[142:143], v[12:13], v[138:139]
	v_fma_f64 v[18:19], v[28:29], s[0:1], v[16:17]
	v_fma_f64 v[16:17], v[62:63], s[4:5], -v[54:55]
	v_fma_f64 v[46:47], v[28:29], s[0:1], v[30:31]
	v_fma_f64 v[50:51], v[28:29], s[0:1], v[20:21]
	v_add_f64 v[54:55], v[108:109], -v[106:107]
	v_fma_f64 v[62:63], v[40:41], s[0:1], v[22:23]
	v_add_f64 v[24:25], v[24:25], v[138:139]
	v_add_f64 v[26:27], v[26:27], v[140:141]
	v_fma_f64 v[32:33], v[40:41], s[0:1], v[32:33]
	v_add_f64 v[34:35], v[34:35], v[138:139]
	v_add_f64 v[144:145], v[14:15], v[140:141]
	v_fma_f64 v[16:17], v[40:41], s[0:1], v[16:17]
	v_add_f64 v[40:41], v[42:43], v[140:141]
	v_add_f64 v[42:43], v[60:61], -v[76:77]
	v_add_f64 v[60:61], v[116:117], -v[114:115]
	v_add_f64 v[20:21], v[62:63], v[24:25]
	v_add_f64 v[22:23], v[26:27], -v[50:51]
	v_add_f64 v[26:27], v[50:51], v[26:27]
	v_add_f64 v[28:29], v[32:33], v[34:35]
	v_add_f64 v[32:33], v[34:35], -v[32:33]
	v_add_f64 v[50:51], v[38:39], -v[56:57]
	v_add_f64 v[24:25], v[24:25], -v[62:63]
	v_add_f64 v[56:57], v[114:115], -v[112:113]
	v_add_f64 v[14:15], v[18:19], v[144:145]
	v_add_f64 v[18:19], v[144:145], -v[18:19]
	v_add_f64 v[12:13], v[142:143], -v[16:17]
	;; [unrolled: 1-line block ×3, first 2 shown]
	v_add_f64 v[34:35], v[46:47], v[40:41]
	v_add_f64 v[40:41], v[52:53], -v[64:65]
	v_add_f64 v[46:47], v[72:73], -v[68:69]
	;; [unrolled: 1-line block ×3, first 2 shown]
	v_fma_f64 v[68:69], v[118:119], s[24:25], v[10:11]
	v_add_f64 v[74:75], v[42:43], -v[48:49]
	v_add_f64 v[58:59], v[58:59], -v[108:109]
	v_add_f64 v[16:17], v[16:17], v[142:143]
	v_add_f64 v[106:107], v[50:51], -v[44:45]
	v_add_f64 v[36:37], v[44:45], -v[40:41]
	v_add_f64 v[38:39], v[44:45], v[40:41]
	v_add_f64 v[62:63], v[40:41], -v[50:51]
	v_mul_f64 v[40:41], v[60:61], s[2:3]
	v_add_f64 v[72:73], v[46:47], -v[42:43]
	v_add_f64 v[70:71], v[46:47], v[42:43]
	v_mul_f64 v[58:59], v[58:59], s[16:17]
	v_mul_f64 v[64:65], v[36:37], s[14:15]
	;; [unrolled: 1-line block ×3, first 2 shown]
	v_add_f64 v[76:77], v[38:39], v[50:51]
	v_fma_f64 v[40:41], v[56:57], s[22:23], -v[40:41]
	v_mul_f64 v[72:73], v[72:73], s[14:15]
	v_add_f64 v[70:71], v[70:71], v[48:49]
	v_mul_f64 v[44:45], v[62:63], s[4:5]
	v_fma_f64 v[36:37], v[52:53], s[22:23], -v[36:37]
	v_add_f64 v[78:79], v[40:41], v[68:69]
	v_fma_f64 v[44:45], v[106:107], s[20:21], -v[44:45]
	v_add_f64 v[42:43], v[36:37], v[66:67]
	v_fma_f64 v[36:37], v[62:63], s[4:5], -v[64:65]
	v_fma_f64 v[40:41], v[76:77], s[0:1], v[36:37]
	v_fma_f64 v[36:37], v[74:75], s[4:5], -v[72:73]
	v_fma_f64 v[80:81], v[70:71], s[0:1], v[36:37]
	v_add_f64 v[36:37], v[42:43], -v[40:41]
	v_add_f64 v[40:41], v[40:41], v[42:43]
	v_add_f64 v[38:39], v[80:81], v[78:79]
	v_add_f64 v[42:43], v[78:79], -v[80:81]
	v_add_f64 v[78:79], v[112:113], -v[116:117]
	;; [unrolled: 1-line block ×3, first 2 shown]
	v_mul_f64 v[46:47], v[74:75], s[4:5]
	v_fma_f64 v[48:49], v[52:53], s[18:19], -v[58:59]
	v_fma_f64 v[52:53], v[76:77], s[0:1], v[44:45]
	v_add_f64 v[74:75], v[82:83], -v[94:95]
	v_add_f64 v[82:83], v[132:133], -v[130:131]
	v_mul_f64 v[78:79], v[78:79], s[16:17]
	v_fma_f64 v[46:47], v[80:81], s[20:21], -v[46:47]
	v_add_f64 v[48:49], v[48:49], v[66:67]
	v_fma_f64 v[50:51], v[56:57], s[18:19], -v[78:79]
	v_fma_f64 v[56:57], v[70:71], s[0:1], v[46:47]
	v_add_f64 v[44:45], v[52:53], v[48:49]
	v_add_f64 v[48:49], v[48:49], -v[52:53]
	v_fma_f64 v[52:53], v[54:55], s[2:3], v[58:59]
	v_fma_f64 v[54:55], v[60:61], s[2:3], v[78:79]
	v_fma_f64 v[58:59], v[80:81], s[12:13], v[72:73]
	v_add_f64 v[72:73], v[84:85], -v[96:97]
	v_add_f64 v[80:81], v[134:135], -v[132:133]
	;; [unrolled: 1-line block ×3, first 2 shown]
	v_add_f64 v[50:51], v[50:51], v[68:69]
	v_add_f64 v[60:61], v[52:53], v[66:67]
	;; [unrolled: 1-line block ×3, first 2 shown]
	v_fma_f64 v[58:59], v[70:71], s[0:1], v[58:59]
	v_add_f64 v[68:69], v[104:105], -v[100:101]
	v_add_f64 v[70:71], v[102:103], -v[98:99]
	v_mul_f64 v[66:67], v[80:81], s[2:3]
	v_add_f64 v[46:47], v[50:51], -v[56:57]
	v_add_f64 v[50:51], v[56:57], v[50:51]
	v_fma_f64 v[56:57], v[106:107], s[12:13], v[64:65]
	v_add_f64 v[54:55], v[62:63], -v[58:59]
	v_add_f64 v[58:59], v[58:59], v[62:63]
	v_add_f64 v[62:63], v[86:87], -v[90:91]
	v_fma_f64 v[90:91], v[136:137], s[24:25], v[6:7]
	v_fma_f64 v[66:67], v[82:83], s[22:23], -v[66:67]
	v_add_f64 v[104:105], v[74:75], -v[70:71]
	v_add_f64 v[106:107], v[72:73], -v[68:69]
	v_fma_f64 v[56:57], v[76:77], s[0:1], v[56:57]
	v_add_f64 v[76:77], v[124:125], -v[122:123]
	v_add_f64 v[94:95], v[70:71], v[62:63]
	v_add_f64 v[96:97], v[62:63], -v[74:75]
	v_add_f64 v[66:67], v[66:67], v[90:91]
	v_add_f64 v[52:53], v[56:57], v[60:61]
	v_add_f64 v[56:57], v[60:61], -v[56:57]
	v_add_f64 v[60:61], v[88:89], -v[92:93]
	;; [unrolled: 1-line block ×3, first 2 shown]
	v_fma_f64 v[88:89], v[126:127], s[24:25], v[4:5]
	v_add_f64 v[94:95], v[94:95], v[74:75]
	v_mul_f64 v[70:71], v[96:97], s[4:5]
	v_add_f64 v[64:65], v[68:69], -v[60:61]
	v_add_f64 v[84:85], v[60:61], -v[72:73]
	v_add_f64 v[60:61], v[68:69], v[60:61]
	v_mul_f64 v[92:93], v[92:93], s[14:15]
	v_fma_f64 v[70:71], v[104:105], s[20:21], -v[70:71]
	v_mul_f64 v[86:87], v[64:65], s[14:15]
	v_mul_f64 v[64:65], v[76:77], s[2:3]
	v_add_f64 v[98:99], v[60:61], v[72:73]
	v_mul_f64 v[68:69], v[84:85], s[4:5]
	v_fma_f64 v[60:61], v[84:85], s[4:5], -v[86:87]
	v_fma_f64 v[64:65], v[78:79], s[22:23], -v[64:65]
	;; [unrolled: 1-line block ×3, first 2 shown]
	v_fma_f64 v[100:101], v[98:99], s[0:1], v[60:61]
	v_fma_f64 v[60:61], v[96:97], s[4:5], -v[92:93]
	v_add_f64 v[64:65], v[64:65], v[88:89]
	v_fma_f64 v[102:103], v[94:95], s[0:1], v[60:61]
	v_add_f64 v[60:61], v[64:65], -v[100:101]
	v_add_f64 v[64:65], v[100:101], v[64:65]
	v_add_f64 v[100:101], v[120:121], -v[124:125]
	v_add_f64 v[62:63], v[102:103], v[66:67]
	v_add_f64 v[66:67], v[66:67], -v[102:103]
	v_add_f64 v[102:103], v[130:131], -v[134:135]
	v_mul_f64 v[100:101], v[100:101], s[16:17]
	v_mul_f64 v[102:103], v[102:103], s[16:17]
	v_fma_f64 v[72:73], v[78:79], s[18:19], -v[100:101]
	v_fma_f64 v[78:79], v[98:99], s[0:1], v[68:69]
	v_fma_f64 v[76:77], v[76:77], s[2:3], v[100:101]
	v_fma_f64 v[74:75], v[82:83], s[18:19], -v[102:103]
	v_add_f64 v[72:73], v[72:73], v[88:89]
	v_fma_f64 v[82:83], v[94:95], s[0:1], v[70:71]
	v_add_f64 v[84:85], v[76:77], v[88:89]
	v_add_f64 v[74:75], v[74:75], v[90:91]
	;; [unrolled: 1-line block ×3, first 2 shown]
	v_add_f64 v[72:73], v[72:73], -v[78:79]
	v_fma_f64 v[78:79], v[80:81], s[2:3], v[102:103]
	v_fma_f64 v[80:81], v[106:107], s[12:13], v[86:87]
	s_mov_b32 s3, 0x3febb67a
	v_add_f64 v[70:71], v[74:75], -v[82:83]
	v_add_f64 v[74:75], v[82:83], v[74:75]
	v_fma_f64 v[82:83], v[104:105], s[12:13], v[92:93]
	v_add_f64 v[86:87], v[78:79], v[90:91]
	v_fma_f64 v[80:81], v[98:99], s[0:1], v[80:81]
	v_fma_f64 v[82:83], v[94:95], s[0:1], v[82:83]
	s_mov_b32 s0, 0xe8584caa
	v_add_f64 v[76:77], v[80:81], v[84:85]
	v_add_f64 v[80:81], v[84:85], -v[80:81]
	s_mov_b32 s1, 0xbfebb67a
	s_mov_b32 s2, s0
	v_add_f64 v[78:79], v[86:87], -v[82:83]
	v_add_f64 v[82:83], v[82:83], v[86:87]
	ds_write_b128 v167, v[0:3]
	ds_write_b128 v167, v[28:31] offset:880
	ds_write_b128 v167, v[20:23] offset:1760
	;; [unrolled: 1-line block ×20, first 2 shown]
	s_waitcnt lgkmcnt(0)
	s_barrier
	buffer_gl0_inv
	ds_read_b128 v[0:3], v167 offset:6160
	ds_read_b128 v[4:7], v167 offset:5280
	s_clause 0x3
	buffer_load_dword v18, off, s[40:43], 0 offset:500
	buffer_load_dword v19, off, s[40:43], 0 offset:504
	;; [unrolled: 1-line block ×4, first 2 shown]
	ds_read_b128 v[8:11], v167 offset:12320
	s_waitcnt vmcnt(0) lgkmcnt(2)
	v_mul_f64 v[12:13], v[20:21], v[2:3]
	v_mul_f64 v[14:15], v[20:21], v[0:1]
	v_fma_f64 v[16:17], v[18:19], v[0:1], v[12:13]
	v_fma_f64 v[18:19], v[18:19], v[2:3], -v[14:15]
	ds_read_b128 v[0:3], v167 offset:13200
	s_clause 0x3
	buffer_load_dword v24, off, s[40:43], 0 offset:484
	buffer_load_dword v25, off, s[40:43], 0 offset:488
	buffer_load_dword v26, off, s[40:43], 0 offset:492
	buffer_load_dword v27, off, s[40:43], 0 offset:496
	ds_read_b128 v[12:15], v167 offset:7040
	s_waitcnt vmcnt(0) lgkmcnt(2)
	v_mul_f64 v[20:21], v[26:27], v[10:11]
	v_mul_f64 v[22:23], v[26:27], v[8:9]
	v_fma_f64 v[20:21], v[24:25], v[8:9], v[20:21]
	v_fma_f64 v[22:23], v[24:25], v[10:11], -v[22:23]
	ds_read_b128 v[8:11], v167 offset:7920
	s_clause 0xb
	buffer_load_dword v28, off, s[40:43], 0 offset:580
	buffer_load_dword v29, off, s[40:43], 0 offset:584
	;; [unrolled: 1-line block ×12, first 2 shown]
	s_waitcnt vmcnt(8) lgkmcnt(1)
	v_mul_f64 v[24:25], v[30:31], v[14:15]
	v_mul_f64 v[26:27], v[30:31], v[12:13]
	s_waitcnt vmcnt(0) lgkmcnt(0)
	v_mul_f64 v[30:31], v[40:41], v[8:9]
	v_fma_f64 v[24:25], v[28:29], v[12:13], v[24:25]
	v_fma_f64 v[26:27], v[28:29], v[14:15], -v[26:27]
	v_mul_f64 v[12:13], v[36:37], v[2:3]
	v_mul_f64 v[14:15], v[36:37], v[0:1]
	;; [unrolled: 1-line block ×3, first 2 shown]
	v_fma_f64 v[32:33], v[34:35], v[0:1], v[12:13]
	v_fma_f64 v[34:35], v[34:35], v[2:3], -v[14:15]
	ds_read_b128 v[0:3], v167 offset:14080
	v_fma_f64 v[36:37], v[38:39], v[8:9], v[28:29]
	v_fma_f64 v[38:39], v[38:39], v[10:11], -v[30:31]
	ds_read_b128 v[8:11], v167 offset:14960
	s_clause 0x3
	buffer_load_dword v42, off, s[40:43], 0 offset:612
	buffer_load_dword v43, off, s[40:43], 0 offset:616
	;; [unrolled: 1-line block ×4, first 2 shown]
	ds_read_b128 v[12:15], v167 offset:8800
	v_add_f64 v[58:59], v[24:25], -v[32:33]
	s_waitcnt vmcnt(0) lgkmcnt(2)
	v_mul_f64 v[28:29], v[44:45], v[2:3]
	v_mul_f64 v[30:31], v[44:45], v[0:1]
	v_fma_f64 v[40:41], v[42:43], v[0:1], v[28:29]
	v_fma_f64 v[42:43], v[42:43], v[2:3], -v[30:31]
	ds_read_b128 v[0:3], v167 offset:9680
	s_waitcnt lgkmcnt(1)
	v_mul_f64 v[28:29], v[182:183], v[14:15]
	v_mul_f64 v[30:31], v[182:183], v[12:13]
	v_fma_f64 v[44:45], v[180:181], v[12:13], v[28:29]
	v_fma_f64 v[46:47], v[180:181], v[14:15], -v[30:31]
	v_mul_f64 v[12:13], v[186:187], v[10:11]
	v_mul_f64 v[14:15], v[186:187], v[8:9]
	s_waitcnt lgkmcnt(0)
	v_mul_f64 v[28:29], v[222:223], v[2:3]
	v_mul_f64 v[30:31], v[222:223], v[0:1]
	v_fma_f64 v[48:49], v[184:185], v[8:9], v[12:13]
	v_fma_f64 v[50:51], v[184:185], v[10:11], -v[14:15]
	ds_read_b128 v[8:11], v167 offset:15840
	v_fma_f64 v[60:61], v[220:221], v[0:1], v[28:29]
	v_fma_f64 v[62:63], v[220:221], v[2:3], -v[30:31]
	ds_read_b128 v[0:3], v167 offset:16720
	ds_read_b128 v[12:15], v167 offset:10560
	s_waitcnt lgkmcnt(2)
	v_mul_f64 v[28:29], v[218:219], v[10:11]
	v_mul_f64 v[30:31], v[218:219], v[8:9]
	v_fma_f64 v[64:65], v[216:217], v[8:9], v[28:29]
	v_fma_f64 v[66:67], v[216:217], v[10:11], -v[30:31]
	ds_read_b128 v[8:11], v167 offset:11440
	s_waitcnt lgkmcnt(1)
	v_mul_f64 v[28:29], v[230:231], v[14:15]
	v_mul_f64 v[30:31], v[230:231], v[12:13]
	v_add_f64 v[84:85], v[60:61], v[64:65]
	v_add_f64 v[86:87], v[62:63], v[66:67]
	v_fma_f64 v[68:69], v[228:229], v[12:13], v[28:29]
	v_fma_f64 v[70:71], v[228:229], v[14:15], -v[30:31]
	v_mul_f64 v[12:13], v[226:227], v[2:3]
	v_mul_f64 v[14:15], v[226:227], v[0:1]
	v_fma_f64 v[72:73], v[224:225], v[0:1], v[12:13]
	v_fma_f64 v[74:75], v[224:225], v[2:3], -v[14:15]
	s_waitcnt lgkmcnt(0)
	v_mul_f64 v[12:13], v[238:239], v[10:11]
	v_mul_f64 v[14:15], v[238:239], v[8:9]
	ds_read_b128 v[0:3], v167 offset:17600
	s_waitcnt lgkmcnt(0)
	v_mul_f64 v[28:29], v[234:235], v[2:3]
	v_mul_f64 v[30:31], v[234:235], v[0:1]
	v_fma_f64 v[76:77], v[236:237], v[8:9], v[12:13]
	v_fma_f64 v[78:79], v[236:237], v[10:11], -v[14:15]
	v_add_f64 v[12:13], v[16:17], v[20:21]
	v_add_f64 v[14:15], v[18:19], v[22:23]
	ds_read_b128 v[8:11], v167
	v_fma_f64 v[80:81], v[232:233], v[0:1], v[28:29]
	v_fma_f64 v[82:83], v[232:233], v[2:3], -v[30:31]
	ds_read_b128 v[0:3], v167 offset:880
	v_add_f64 v[30:31], v[26:27], v[34:35]
	s_waitcnt lgkmcnt(1)
	v_add_f64 v[28:29], v[8:9], v[16:17]
	v_fma_f64 v[12:13], v[12:13], -0.5, v[8:9]
	v_add_f64 v[8:9], v[10:11], v[18:19]
	v_fma_f64 v[14:15], v[14:15], -0.5, v[10:11]
	v_add_f64 v[10:11], v[24:25], v[32:33]
	v_add_f64 v[16:17], v[16:17], -v[20:21]
	s_waitcnt lgkmcnt(0)
	v_add_f64 v[54:55], v[0:1], v[24:25]
	v_add_f64 v[56:57], v[2:3], v[26:27]
	v_add_f64 v[26:27], v[26:27], -v[34:35]
	v_fma_f64 v[30:31], v[30:31], -0.5, v[2:3]
	v_add_f64 v[2:3], v[8:9], v[22:23]
	v_fma_f64 v[52:53], v[10:11], -0.5, v[0:1]
	v_add_f64 v[10:11], v[18:19], -v[22:23]
	v_add_f64 v[0:1], v[28:29], v[20:21]
	v_add_f64 v[18:19], v[56:57], v[34:35]
	v_fma_f64 v[22:23], v[58:59], s[2:3], v[30:31]
	v_fma_f64 v[20:21], v[26:27], s[0:1], v[52:53]
	;; [unrolled: 1-line block ×6, first 2 shown]
	v_add_f64 v[16:17], v[54:55], v[32:33]
	v_add_f64 v[54:55], v[38:39], v[42:43]
	v_fma_f64 v[24:25], v[26:27], s[2:3], v[52:53]
	v_fma_f64 v[26:27], v[58:59], s[0:1], v[30:31]
	ds_read_b128 v[28:31], v167 offset:1760
	ds_read_b128 v[32:35], v167 offset:2640
	v_add_f64 v[52:53], v[36:37], v[40:41]
	s_waitcnt lgkmcnt(1)
	v_fma_f64 v[54:55], v[54:55], -0.5, v[30:31]
	v_add_f64 v[30:31], v[30:31], v[38:39]
	v_add_f64 v[38:39], v[38:39], -v[42:43]
	v_fma_f64 v[52:53], v[52:53], -0.5, v[28:29]
	v_add_f64 v[28:29], v[28:29], v[36:37]
	v_add_f64 v[30:31], v[30:31], v[42:43]
	v_add_f64 v[42:43], v[36:37], -v[40:41]
	v_fma_f64 v[36:37], v[38:39], s[0:1], v[52:53]
	v_add_f64 v[28:29], v[28:29], v[40:41]
	v_fma_f64 v[40:41], v[38:39], s[2:3], v[52:53]
	v_add_f64 v[52:53], v[44:45], v[48:49]
	v_fma_f64 v[38:39], v[42:43], s[2:3], v[54:55]
	v_fma_f64 v[42:43], v[42:43], s[0:1], v[54:55]
	v_add_f64 v[54:55], v[46:47], v[50:51]
	s_waitcnt lgkmcnt(0)
	v_fma_f64 v[52:53], v[52:53], -0.5, v[32:33]
	v_add_f64 v[32:33], v[32:33], v[44:45]
	v_fma_f64 v[54:55], v[54:55], -0.5, v[34:35]
	v_add_f64 v[34:35], v[34:35], v[46:47]
	v_add_f64 v[46:47], v[46:47], -v[50:51]
	v_add_f64 v[32:33], v[32:33], v[48:49]
	v_add_f64 v[34:35], v[34:35], v[50:51]
	v_add_f64 v[50:51], v[44:45], -v[48:49]
	v_fma_f64 v[44:45], v[46:47], s[0:1], v[52:53]
	v_fma_f64 v[48:49], v[46:47], s[2:3], v[52:53]
	;; [unrolled: 1-line block ×4, first 2 shown]
	ds_read_b128 v[52:55], v167 offset:3520
	ds_read_b128 v[56:59], v167 offset:4400
	s_waitcnt lgkmcnt(1)
	v_fma_f64 v[86:87], v[86:87], -0.5, v[54:55]
	v_add_f64 v[54:55], v[54:55], v[62:63]
	v_fma_f64 v[84:85], v[84:85], -0.5, v[52:53]
	v_add_f64 v[52:53], v[52:53], v[60:61]
	v_add_f64 v[62:63], v[62:63], -v[66:67]
	v_add_f64 v[54:55], v[54:55], v[66:67]
	v_add_f64 v[66:67], v[60:61], -v[64:65]
	v_add_f64 v[52:53], v[52:53], v[64:65]
	v_fma_f64 v[60:61], v[62:63], s[0:1], v[84:85]
	v_fma_f64 v[64:65], v[62:63], s[2:3], v[84:85]
	v_add_f64 v[84:85], v[68:69], v[72:73]
	v_fma_f64 v[62:63], v[66:67], s[2:3], v[86:87]
	v_fma_f64 v[66:67], v[66:67], s[0:1], v[86:87]
	v_add_f64 v[86:87], v[70:71], v[74:75]
	s_waitcnt lgkmcnt(0)
	v_fma_f64 v[84:85], v[84:85], -0.5, v[56:57]
	v_add_f64 v[56:57], v[56:57], v[68:69]
	v_fma_f64 v[86:87], v[86:87], -0.5, v[58:59]
	v_add_f64 v[58:59], v[58:59], v[70:71]
	v_add_f64 v[70:71], v[70:71], -v[74:75]
	v_add_f64 v[56:57], v[56:57], v[72:73]
	v_add_f64 v[58:59], v[58:59], v[74:75]
	v_add_f64 v[74:75], v[68:69], -v[72:73]
	v_fma_f64 v[68:69], v[70:71], s[0:1], v[84:85]
	v_fma_f64 v[72:73], v[70:71], s[2:3], v[84:85]
	v_add_f64 v[84:85], v[76:77], v[80:81]
	v_fma_f64 v[70:71], v[74:75], s[2:3], v[86:87]
	v_fma_f64 v[74:75], v[74:75], s[0:1], v[86:87]
	v_add_f64 v[86:87], v[78:79], v[82:83]
	v_fma_f64 v[84:85], v[84:85], -0.5, v[4:5]
	v_add_f64 v[4:5], v[4:5], v[76:77]
	v_fma_f64 v[86:87], v[86:87], -0.5, v[6:7]
	v_add_f64 v[6:7], v[6:7], v[78:79]
	v_add_f64 v[78:79], v[78:79], -v[82:83]
	v_add_f64 v[4:5], v[4:5], v[80:81]
	v_add_f64 v[6:7], v[6:7], v[82:83]
	v_add_f64 v[82:83], v[76:77], -v[80:81]
	v_fma_f64 v[76:77], v[78:79], s[0:1], v[84:85]
	v_fma_f64 v[80:81], v[78:79], s[2:3], v[84:85]
	v_fma_f64 v[78:79], v[82:83], s[2:3], v[86:87]
	v_fma_f64 v[82:83], v[82:83], s[0:1], v[86:87]
	ds_write_b128 v167, v[0:3]
	ds_write_b128 v167, v[8:11] offset:6160
	ds_write_b128 v167, v[12:15] offset:12320
	;; [unrolled: 1-line block ×20, first 2 shown]
	s_waitcnt lgkmcnt(0)
	s_barrier
	buffer_gl0_inv
	ds_read_b128 v[0:3], v167
	ds_read_b128 v[4:7], v167 offset:1680
	s_clause 0xa
	buffer_load_dword v18, off, s[40:43], 0 offset:140
	buffer_load_dword v19, off, s[40:43], 0 offset:144
	;; [unrolled: 1-line block ×11, first 2 shown]
	s_mov_b32 s2, 0x33a4aea8
	s_mov_b32 s3, 0x3f4c5edd
	s_mul_hi_u32 s1, s8, 0x69
	s_waitcnt vmcnt(7) lgkmcnt(1)
	v_mul_f64 v[8:9], v[20:21], v[2:3]
	v_mul_f64 v[10:11], v[20:21], v[0:1]
	s_waitcnt vmcnt(6)
	v_mov_b32_e32 v14, v12
	s_waitcnt vmcnt(0) lgkmcnt(0)
	v_mul_f64 v[20:21], v[30:31], v[6:7]
	v_mul_f64 v[22:23], v[30:31], v[4:5]
	v_mad_u64_u32 v[16:17], null, s10, v14, 0
	v_mov_b32_e32 v12, v17
	v_fma_f64 v[8:9], v[18:19], v[0:1], v[8:9]
	v_fma_f64 v[10:11], v[18:19], v[2:3], -v[10:11]
	v_mad_u64_u32 v[18:19], null, s8, v24, 0
	ds_read_b128 v[0:3], v167 offset:3360
	v_fma_f64 v[20:21], v[28:29], v[4:5], v[20:21]
	v_mov_b32_e32 v13, v19
	v_mad_u64_u32 v[14:15], null, s11, v14, v[12:13]
	v_mul_f64 v[8:9], v[8:9], s[2:3]
	v_mad_u64_u32 v[12:13], null, s9, v24, v[13:14]
	v_mov_b32_e32 v17, v14
	v_mul_f64 v[10:11], v[10:11], s[2:3]
	v_lshlrev_b64 v[4:5], 4, v[16:17]
	v_mov_b32_e32 v19, v12
	ds_read_b128 v[12:15], v167 offset:5040
	s_clause 0x3
	buffer_load_dword v30, off, s[40:43], 0 offset:284
	buffer_load_dword v31, off, s[40:43], 0 offset:288
	;; [unrolled: 1-line block ×4, first 2 shown]
	v_lshlrev_b64 v[16:17], 4, v[18:19]
	v_fma_f64 v[18:19], v[28:29], v[6:7], -v[22:23]
	v_add_co_u32 v22, s0, s6, v4
	v_add_co_ci_u32_e64 v23, s0, s7, v5, s0
	ds_read_b128 v[4:7], v167 offset:6720
	v_add_co_u32 v28, s0, v22, v16
	v_add_co_ci_u32_e64 v29, s0, v23, v17, s0
	s_mul_i32 s0, s9, 0x69
	s_add_i32 s1, s1, s0
	global_store_dwordx4 v[28:29], v[8:11], off
	s_clause 0x3
	buffer_load_dword v50, off, s[40:43], 0 offset:204
	buffer_load_dword v51, off, s[40:43], 0 offset:208
	;; [unrolled: 1-line block ×4, first 2 shown]
	ds_read_b128 v[8:11], v167 offset:8400
	s_clause 0x3
	buffer_load_dword v56, off, s[40:43], 0 offset:268
	buffer_load_dword v57, off, s[40:43], 0 offset:272
	;; [unrolled: 1-line block ×4, first 2 shown]
	s_mul_i32 s0, s8, 0x69
	s_lshl_b64 s[4:5], s[0:1], 4
	v_add_co_u32 v48, s0, v28, s4
	v_add_co_ci_u32_e64 v49, s0, s5, v29, s0
	s_waitcnt vmcnt(8) lgkmcnt(3)
	v_mul_f64 v[24:25], v[32:33], v[2:3]
	v_mul_f64 v[26:27], v[32:33], v[0:1]
	s_waitcnt vmcnt(4) lgkmcnt(2)
	v_mul_f64 v[40:41], v[52:53], v[14:15]
	v_mul_f64 v[42:43], v[52:53], v[12:13]
	;; [unrolled: 3-line block ×3, first 2 shown]
	v_fma_f64 v[32:33], v[30:31], v[0:1], v[24:25]
	v_mul_f64 v[0:1], v[20:21], s[2:3]
	v_fma_f64 v[34:35], v[30:31], v[2:3], -v[26:27]
	v_mul_f64 v[2:3], v[18:19], s[2:3]
	ds_read_b128 v[16:19], v167 offset:10080
	ds_read_b128 v[20:23], v167 offset:11760
	;; [unrolled: 1-line block ×5, first 2 shown]
	s_clause 0xf
	buffer_load_dword v76, off, s[40:43], 0 offset:188
	buffer_load_dword v77, off, s[40:43], 0 offset:192
	;; [unrolled: 1-line block ×16, first 2 shown]
	v_fma_f64 v[12:13], v[50:51], v[12:13], v[40:41]
	v_fma_f64 v[14:15], v[50:51], v[14:15], -v[42:43]
	v_fma_f64 v[4:5], v[56:57], v[4:5], v[44:45]
	v_fma_f64 v[6:7], v[56:57], v[6:7], -v[46:47]
	v_mul_f64 v[32:33], v[32:33], s[2:3]
	v_add_co_u32 v50, s0, v48, s4
	v_mul_f64 v[34:35], v[34:35], s[2:3]
	v_add_co_ci_u32_e64 v51, s0, s5, v49, s0
	v_mul_f64 v[4:5], v[4:5], s[2:3]
	v_mul_f64 v[6:7], v[6:7], s[2:3]
	s_waitcnt vmcnt(12) lgkmcnt(5)
	v_mul_f64 v[40:41], v[78:79], v[10:11]
	v_mul_f64 v[42:43], v[78:79], v[8:9]
	s_clause 0x3
	buffer_load_dword v78, off, s[40:43], 0 offset:220
	buffer_load_dword v79, off, s[40:43], 0 offset:224
	;; [unrolled: 1-line block ×4, first 2 shown]
	s_waitcnt vmcnt(4) lgkmcnt(2)
	v_mul_f64 v[56:57], v[84:85], v[26:27]
	v_mul_f64 v[58:59], v[84:85], v[24:25]
	s_clause 0x3
	buffer_load_dword v84, off, s[40:43], 0 offset:252
	buffer_load_dword v85, off, s[40:43], 0 offset:256
	;; [unrolled: 1-line block ×4, first 2 shown]
	v_mul_f64 v[52:53], v[74:75], v[18:19]
	v_mul_f64 v[54:55], v[74:75], v[16:17]
	;; [unrolled: 1-line block ×4, first 2 shown]
	global_store_dwordx4 v[48:49], v[0:3], off
	global_store_dwordx4 v[50:51], v[32:35], off
	v_mul_f64 v[0:1], v[12:13], s[2:3]
	v_mul_f64 v[2:3], v[14:15], s[2:3]
	v_add_co_u32 v32, s0, v50, s4
	v_add_co_ci_u32_e64 v33, s0, s5, v51, s0
	v_add_co_u32 v34, s0, v32, s4
	v_add_co_ci_u32_e64 v35, s0, s5, v33, s0
	v_fma_f64 v[8:9], v[76:77], v[8:9], v[40:41]
	v_fma_f64 v[10:11], v[76:77], v[10:11], -v[42:43]
	v_fma_f64 v[12:13], v[72:73], v[16:17], v[52:53]
	v_fma_f64 v[14:15], v[72:73], v[18:19], -v[54:55]
	v_fma_f64 v[16:17], v[68:69], v[20:21], v[44:45]
	v_fma_f64 v[18:19], v[68:69], v[22:23], -v[46:47]
	v_fma_f64 v[20:21], v[82:83], v[24:25], v[56:57]
	v_fma_f64 v[22:23], v[82:83], v[26:27], -v[58:59]
	global_store_dwordx4 v[32:33], v[0:3], off
	global_store_dwordx4 v[34:35], v[4:7], off
	v_mul_f64 v[8:9], v[8:9], s[2:3]
	v_mul_f64 v[10:11], v[10:11], s[2:3]
	v_mul_f64 v[12:13], v[12:13], s[2:3]
	v_mul_f64 v[14:15], v[14:15], s[2:3]
	v_mul_f64 v[16:17], v[16:17], s[2:3]
	v_mul_f64 v[18:19], v[18:19], s[2:3]
	v_mul_f64 v[20:21], v[20:21], s[2:3]
	v_mul_f64 v[22:23], v[22:23], s[2:3]
	s_waitcnt vmcnt(4) lgkmcnt(1)
	v_mul_f64 v[60:61], v[80:81], v[30:31]
	v_mul_f64 v[62:63], v[80:81], v[28:29]
	s_waitcnt vmcnt(0) lgkmcnt(0)
	v_mul_f64 v[64:65], v[86:87], v[38:39]
	v_mul_f64 v[66:67], v[86:87], v[36:37]
	v_fma_f64 v[24:25], v[78:79], v[28:29], v[60:61]
	v_fma_f64 v[26:27], v[78:79], v[30:31], -v[62:63]
	v_fma_f64 v[28:29], v[84:85], v[36:37], v[64:65]
	v_fma_f64 v[30:31], v[84:85], v[38:39], -v[66:67]
	v_add_co_u32 v36, s0, v34, s4
	v_add_co_ci_u32_e64 v37, s0, s5, v35, s0
	v_add_co_u32 v38, s0, v36, s4
	v_add_co_ci_u32_e64 v39, s0, s5, v37, s0
	global_store_dwordx4 v[36:37], v[8:11], off
	v_add_co_u32 v40, s0, v38, s4
	v_add_co_ci_u32_e64 v41, s0, s5, v39, s0
	v_add_co_u32 v2, s0, v40, s4
	v_mul_f64 v[24:25], v[24:25], s[2:3]
	v_mul_f64 v[26:27], v[26:27], s[2:3]
	v_add_co_ci_u32_e64 v3, s0, s5, v41, s0
	v_mul_f64 v[28:29], v[28:29], s[2:3]
	v_mul_f64 v[30:31], v[30:31], s[2:3]
	v_add_co_u32 v4, s0, v2, s4
	v_add_co_ci_u32_e64 v5, s0, s5, v3, s0
	v_add_co_u32 v0, s0, v4, s4
	v_add_co_ci_u32_e64 v1, s0, s5, v5, s0
	global_store_dwordx4 v[38:39], v[12:15], off
	global_store_dwordx4 v[40:41], v[16:19], off
	;; [unrolled: 1-line block ×5, first 2 shown]
	s_and_b32 exec_lo, exec_lo, vcc_lo
	s_cbranch_execz .LBB0_23
; %bb.22:
	global_load_dwordx4 v[2:5], v[128:129], off offset:880
	ds_read_b128 v[6:9], v167 offset:880
	ds_read_b128 v[10:13], v167 offset:2560
	s_mul_i32 s0, s9, 0xffffc1d0
	s_sub_i32 s0, s0, s8
	s_waitcnt vmcnt(0) lgkmcnt(1)
	v_mul_f64 v[14:15], v[8:9], v[4:5]
	v_mul_f64 v[4:5], v[6:7], v[4:5]
	v_fma_f64 v[6:7], v[6:7], v[2:3], v[14:15]
	v_fma_f64 v[4:5], v[2:3], v[8:9], -v[4:5]
	v_mul_f64 v[2:3], v[6:7], s[2:3]
	v_mul_f64 v[4:5], v[4:5], s[2:3]
	v_mad_u64_u32 v[6:7], null, 0xffffc1d0, s8, v[0:1]
	v_add_nc_u32_e32 v7, s0, v7
	global_store_dwordx4 v[6:7], v[2:5], off
	s_clause 0x1
	buffer_load_dword v0, off, s[40:43], 0 offset:104
	buffer_load_dword v1, off, s[40:43], 0 offset:108
	s_waitcnt vmcnt(0)
	global_load_dwordx4 v[0:3], v[0:1], off offset:512
	s_waitcnt vmcnt(0) lgkmcnt(0)
	v_mul_f64 v[4:5], v[12:13], v[2:3]
	v_mul_f64 v[2:3], v[10:11], v[2:3]
	v_fma_f64 v[4:5], v[10:11], v[0:1], v[4:5]
	v_fma_f64 v[2:3], v[0:1], v[12:13], -v[2:3]
	v_add_co_u32 v12, vcc_lo, v6, s4
	v_add_co_ci_u32_e32 v13, vcc_lo, s5, v7, vcc_lo
	v_mul_f64 v[0:1], v[4:5], s[2:3]
	v_mul_f64 v[2:3], v[2:3], s[2:3]
	global_store_dwordx4 v[12:13], v[0:3], off
	s_clause 0x1
	buffer_load_dword v16, off, s[40:43], 0 offset:88
	buffer_load_dword v17, off, s[40:43], 0 offset:92
	s_waitcnt vmcnt(0)
	global_load_dwordx4 v[0:3], v[16:17], off offset:144
	ds_read_b128 v[4:7], v167 offset:4240
	ds_read_b128 v[8:11], v167 offset:5920
	s_waitcnt vmcnt(0) lgkmcnt(1)
	v_mul_f64 v[14:15], v[6:7], v[2:3]
	v_mul_f64 v[2:3], v[4:5], v[2:3]
	v_fma_f64 v[4:5], v[4:5], v[0:1], v[14:15]
	v_fma_f64 v[2:3], v[0:1], v[6:7], -v[2:3]
	v_mul_f64 v[0:1], v[4:5], s[2:3]
	v_mul_f64 v[2:3], v[2:3], s[2:3]
	v_add_co_u32 v4, vcc_lo, v12, s4
	v_add_co_ci_u32_e32 v5, vcc_lo, s5, v13, vcc_lo
	v_add_co_u32 v12, vcc_lo, v4, s4
	v_add_co_ci_u32_e32 v13, vcc_lo, s5, v5, vcc_lo
	global_store_dwordx4 v[4:5], v[0:3], off
	global_load_dwordx4 v[0:3], v[16:17], off offset:1824
	s_waitcnt vmcnt(0) lgkmcnt(0)
	v_mul_f64 v[6:7], v[10:11], v[2:3]
	v_mul_f64 v[2:3], v[8:9], v[2:3]
	v_fma_f64 v[6:7], v[8:9], v[0:1], v[6:7]
	v_fma_f64 v[2:3], v[0:1], v[10:11], -v[2:3]
	v_mul_f64 v[0:1], v[6:7], s[2:3]
	v_mul_f64 v[2:3], v[2:3], s[2:3]
	global_store_dwordx4 v[12:13], v[0:3], off
	s_clause 0x1
	buffer_load_dword v0, off, s[40:43], 0 offset:80
	buffer_load_dword v1, off, s[40:43], 0 offset:84
	s_waitcnt vmcnt(0)
	global_load_dwordx4 v[0:3], v[0:1], off offset:1456
	ds_read_b128 v[4:7], v167 offset:7600
	ds_read_b128 v[8:11], v167 offset:9280
	s_waitcnt vmcnt(0) lgkmcnt(1)
	v_mul_f64 v[14:15], v[6:7], v[2:3]
	v_mul_f64 v[2:3], v[4:5], v[2:3]
	v_fma_f64 v[4:5], v[4:5], v[0:1], v[14:15]
	v_fma_f64 v[2:3], v[0:1], v[6:7], -v[2:3]
	v_mul_f64 v[0:1], v[4:5], s[2:3]
	v_mul_f64 v[2:3], v[2:3], s[2:3]
	v_add_co_u32 v4, vcc_lo, v12, s4
	v_add_co_ci_u32_e32 v5, vcc_lo, s5, v13, vcc_lo
	v_add_co_u32 v12, vcc_lo, v4, s4
	v_add_co_ci_u32_e32 v13, vcc_lo, s5, v5, vcc_lo
	global_store_dwordx4 v[4:5], v[0:3], off
	s_clause 0x1
	buffer_load_dword v0, off, s[40:43], 0 offset:72
	buffer_load_dword v1, off, s[40:43], 0 offset:76
	s_waitcnt vmcnt(0)
	global_load_dwordx4 v[0:3], v[0:1], off offset:1088
	s_waitcnt vmcnt(0) lgkmcnt(0)
	v_mul_f64 v[6:7], v[10:11], v[2:3]
	v_mul_f64 v[2:3], v[8:9], v[2:3]
	v_fma_f64 v[6:7], v[8:9], v[0:1], v[6:7]
	v_fma_f64 v[2:3], v[0:1], v[10:11], -v[2:3]
	v_mul_f64 v[0:1], v[6:7], s[2:3]
	v_mul_f64 v[2:3], v[2:3], s[2:3]
	global_store_dwordx4 v[12:13], v[0:3], off
	s_clause 0x1
	buffer_load_dword v0, off, s[40:43], 0 offset:96
	buffer_load_dword v1, off, s[40:43], 0 offset:100
	s_waitcnt vmcnt(0)
	global_load_dwordx4 v[0:3], v[0:1], off offset:720
	ds_read_b128 v[4:7], v167 offset:10960
	ds_read_b128 v[8:11], v167 offset:12640
	s_waitcnt vmcnt(0) lgkmcnt(1)
	v_mul_f64 v[14:15], v[6:7], v[2:3]
	v_mul_f64 v[2:3], v[4:5], v[2:3]
	v_fma_f64 v[4:5], v[4:5], v[0:1], v[14:15]
	v_fma_f64 v[2:3], v[0:1], v[6:7], -v[2:3]
	v_mul_f64 v[0:1], v[4:5], s[2:3]
	v_mul_f64 v[2:3], v[2:3], s[2:3]
	v_add_co_u32 v4, vcc_lo, v12, s4
	v_add_co_ci_u32_e32 v5, vcc_lo, s5, v13, vcc_lo
	v_add_co_u32 v12, vcc_lo, v4, s4
	v_add_co_ci_u32_e32 v13, vcc_lo, s5, v5, vcc_lo
	global_store_dwordx4 v[4:5], v[0:3], off
	s_clause 0x1
	buffer_load_dword v14, off, s[40:43], 0 offset:64
	buffer_load_dword v15, off, s[40:43], 0 offset:68
	s_waitcnt vmcnt(0)
	global_load_dwordx4 v[0:3], v[14:15], off offset:352
	s_waitcnt vmcnt(0) lgkmcnt(0)
	v_mul_f64 v[6:7], v[10:11], v[2:3]
	v_mul_f64 v[2:3], v[8:9], v[2:3]
	v_fma_f64 v[6:7], v[8:9], v[0:1], v[6:7]
	v_fma_f64 v[2:3], v[0:1], v[10:11], -v[2:3]
	v_mul_f64 v[0:1], v[6:7], s[2:3]
	v_mul_f64 v[2:3], v[2:3], s[2:3]
	global_store_dwordx4 v[12:13], v[0:3], off
	global_load_dwordx4 v[0:3], v[14:15], off offset:2032
	ds_read_b128 v[4:7], v167 offset:14320
	ds_read_b128 v[8:11], v167 offset:16000
	s_waitcnt vmcnt(0) lgkmcnt(1)
	v_mul_f64 v[14:15], v[6:7], v[2:3]
	v_mul_f64 v[2:3], v[4:5], v[2:3]
	v_fma_f64 v[4:5], v[4:5], v[0:1], v[14:15]
	v_fma_f64 v[2:3], v[0:1], v[6:7], -v[2:3]
	v_mul_f64 v[0:1], v[4:5], s[2:3]
	v_mul_f64 v[2:3], v[2:3], s[2:3]
	v_add_co_u32 v4, vcc_lo, v12, s4
	v_add_co_ci_u32_e32 v5, vcc_lo, s5, v13, vcc_lo
	global_store_dwordx4 v[4:5], v[0:3], off
	s_clause 0x1
	buffer_load_dword v0, off, s[40:43], 0 offset:56
	buffer_load_dword v1, off, s[40:43], 0 offset:60
	s_waitcnt vmcnt(0)
	global_load_dwordx4 v[0:3], v[0:1], off offset:1664
	s_waitcnt vmcnt(0) lgkmcnt(0)
	v_mul_f64 v[6:7], v[10:11], v[2:3]
	v_mul_f64 v[2:3], v[8:9], v[2:3]
	v_fma_f64 v[6:7], v[8:9], v[0:1], v[6:7]
	v_fma_f64 v[2:3], v[0:1], v[10:11], -v[2:3]
	v_add_co_u32 v8, vcc_lo, v4, s4
	v_add_co_ci_u32_e32 v9, vcc_lo, s5, v5, vcc_lo
	v_mul_f64 v[0:1], v[6:7], s[2:3]
	v_mul_f64 v[2:3], v[2:3], s[2:3]
	global_store_dwordx4 v[8:9], v[0:3], off
	s_clause 0x1
	buffer_load_dword v0, off, s[40:43], 0 offset:48
	buffer_load_dword v1, off, s[40:43], 0 offset:52
	ds_read_b128 v[4:7], v167 offset:17680
	s_waitcnt vmcnt(0)
	global_load_dwordx4 v[0:3], v[0:1], off offset:1296
	s_waitcnt vmcnt(0) lgkmcnt(0)
	v_mul_f64 v[10:11], v[6:7], v[2:3]
	v_mul_f64 v[2:3], v[4:5], v[2:3]
	v_fma_f64 v[4:5], v[4:5], v[0:1], v[10:11]
	v_fma_f64 v[2:3], v[0:1], v[6:7], -v[2:3]
	v_mul_f64 v[0:1], v[4:5], s[2:3]
	v_mul_f64 v[2:3], v[2:3], s[2:3]
	v_add_co_u32 v4, vcc_lo, v8, s4
	v_add_co_ci_u32_e32 v5, vcc_lo, s5, v9, vcc_lo
	global_store_dwordx4 v[4:5], v[0:3], off
.LBB0_23:
	s_endpgm
	.section	.rodata,"a",@progbits
	.p2align	6, 0x0
	.amdhsa_kernel bluestein_single_back_len1155_dim1_dp_op_CI_CI
		.amdhsa_group_segment_fixed_size 18480
		.amdhsa_private_segment_fixed_size 716
		.amdhsa_kernarg_size 104
		.amdhsa_user_sgpr_count 6
		.amdhsa_user_sgpr_private_segment_buffer 1
		.amdhsa_user_sgpr_dispatch_ptr 0
		.amdhsa_user_sgpr_queue_ptr 0
		.amdhsa_user_sgpr_kernarg_segment_ptr 1
		.amdhsa_user_sgpr_dispatch_id 0
		.amdhsa_user_sgpr_flat_scratch_init 0
		.amdhsa_user_sgpr_private_segment_size 0
		.amdhsa_wavefront_size32 1
		.amdhsa_uses_dynamic_stack 0
		.amdhsa_system_sgpr_private_segment_wavefront_offset 1
		.amdhsa_system_sgpr_workgroup_id_x 1
		.amdhsa_system_sgpr_workgroup_id_y 0
		.amdhsa_system_sgpr_workgroup_id_z 0
		.amdhsa_system_sgpr_workgroup_info 0
		.amdhsa_system_vgpr_workitem_id 0
		.amdhsa_next_free_vgpr 256
		.amdhsa_next_free_sgpr 44
		.amdhsa_reserve_vcc 1
		.amdhsa_reserve_flat_scratch 0
		.amdhsa_float_round_mode_32 0
		.amdhsa_float_round_mode_16_64 0
		.amdhsa_float_denorm_mode_32 3
		.amdhsa_float_denorm_mode_16_64 3
		.amdhsa_dx10_clamp 1
		.amdhsa_ieee_mode 1
		.amdhsa_fp16_overflow 0
		.amdhsa_workgroup_processor_mode 1
		.amdhsa_memory_ordered 1
		.amdhsa_forward_progress 0
		.amdhsa_shared_vgpr_count 0
		.amdhsa_exception_fp_ieee_invalid_op 0
		.amdhsa_exception_fp_denorm_src 0
		.amdhsa_exception_fp_ieee_div_zero 0
		.amdhsa_exception_fp_ieee_overflow 0
		.amdhsa_exception_fp_ieee_underflow 0
		.amdhsa_exception_fp_ieee_inexact 0
		.amdhsa_exception_int_div_zero 0
	.end_amdhsa_kernel
	.text
.Lfunc_end0:
	.size	bluestein_single_back_len1155_dim1_dp_op_CI_CI, .Lfunc_end0-bluestein_single_back_len1155_dim1_dp_op_CI_CI
                                        ; -- End function
	.section	.AMDGPU.csdata,"",@progbits
; Kernel info:
; codeLenInByte = 38312
; NumSgprs: 46
; NumVgprs: 256
; ScratchSize: 716
; MemoryBound: 0
; FloatMode: 240
; IeeeMode: 1
; LDSByteSize: 18480 bytes/workgroup (compile time only)
; SGPRBlocks: 5
; VGPRBlocks: 31
; NumSGPRsForWavesPerEU: 46
; NumVGPRsForWavesPerEU: 256
; Occupancy: 4
; WaveLimiterHint : 1
; COMPUTE_PGM_RSRC2:SCRATCH_EN: 1
; COMPUTE_PGM_RSRC2:USER_SGPR: 6
; COMPUTE_PGM_RSRC2:TRAP_HANDLER: 0
; COMPUTE_PGM_RSRC2:TGID_X_EN: 1
; COMPUTE_PGM_RSRC2:TGID_Y_EN: 0
; COMPUTE_PGM_RSRC2:TGID_Z_EN: 0
; COMPUTE_PGM_RSRC2:TIDIG_COMP_CNT: 0
	.text
	.p2alignl 6, 3214868480
	.fill 48, 4, 3214868480
	.type	__hip_cuid_75e13c184e2c565c,@object ; @__hip_cuid_75e13c184e2c565c
	.section	.bss,"aw",@nobits
	.globl	__hip_cuid_75e13c184e2c565c
__hip_cuid_75e13c184e2c565c:
	.byte	0                               ; 0x0
	.size	__hip_cuid_75e13c184e2c565c, 1

	.ident	"AMD clang version 19.0.0git (https://github.com/RadeonOpenCompute/llvm-project roc-6.4.0 25133 c7fe45cf4b819c5991fe208aaa96edf142730f1d)"
	.section	".note.GNU-stack","",@progbits
	.addrsig
	.addrsig_sym __hip_cuid_75e13c184e2c565c
	.amdgpu_metadata
---
amdhsa.kernels:
  - .args:
      - .actual_access:  read_only
        .address_space:  global
        .offset:         0
        .size:           8
        .value_kind:     global_buffer
      - .actual_access:  read_only
        .address_space:  global
        .offset:         8
        .size:           8
        .value_kind:     global_buffer
      - .actual_access:  read_only
        .address_space:  global
        .offset:         16
        .size:           8
        .value_kind:     global_buffer
      - .actual_access:  read_only
        .address_space:  global
        .offset:         24
        .size:           8
        .value_kind:     global_buffer
      - .actual_access:  read_only
        .address_space:  global
        .offset:         32
        .size:           8
        .value_kind:     global_buffer
      - .offset:         40
        .size:           8
        .value_kind:     by_value
      - .address_space:  global
        .offset:         48
        .size:           8
        .value_kind:     global_buffer
      - .address_space:  global
        .offset:         56
        .size:           8
        .value_kind:     global_buffer
      - .address_space:  global
        .offset:         64
        .size:           8
        .value_kind:     global_buffer
      - .address_space:  global
        .offset:         72
        .size:           8
        .value_kind:     global_buffer
      - .offset:         80
        .size:           4
        .value_kind:     by_value
      - .address_space:  global
        .offset:         88
        .size:           8
        .value_kind:     global_buffer
      - .address_space:  global
        .offset:         96
        .size:           8
        .value_kind:     global_buffer
    .group_segment_fixed_size: 18480
    .kernarg_segment_align: 8
    .kernarg_segment_size: 104
    .language:       OpenCL C
    .language_version:
      - 2
      - 0
    .max_flat_workgroup_size: 55
    .name:           bluestein_single_back_len1155_dim1_dp_op_CI_CI
    .private_segment_fixed_size: 716
    .sgpr_count:     46
    .sgpr_spill_count: 0
    .symbol:         bluestein_single_back_len1155_dim1_dp_op_CI_CI.kd
    .uniform_work_group_size: 1
    .uses_dynamic_stack: false
    .vgpr_count:     256
    .vgpr_spill_count: 190
    .wavefront_size: 32
    .workgroup_processor_mode: 1
amdhsa.target:   amdgcn-amd-amdhsa--gfx1030
amdhsa.version:
  - 1
  - 2
...

	.end_amdgpu_metadata
